;; amdgpu-corpus repo=ROCm/rocFFT kind=compiled arch=gfx1201 opt=O3
	.text
	.amdgcn_target "amdgcn-amd-amdhsa--gfx1201"
	.amdhsa_code_object_version 6
	.protected	bluestein_single_back_len1911_dim1_half_op_CI_CI ; -- Begin function bluestein_single_back_len1911_dim1_half_op_CI_CI
	.globl	bluestein_single_back_len1911_dim1_half_op_CI_CI
	.p2align	8
	.type	bluestein_single_back_len1911_dim1_half_op_CI_CI,@function
bluestein_single_back_len1911_dim1_half_op_CI_CI: ; @bluestein_single_back_len1911_dim1_half_op_CI_CI
; %bb.0:
	s_load_b128 s[12:15], s[0:1], 0x28
	v_mul_u32_u24_e32 v1, 0x2d1, v0
	s_mov_b32 s2, exec_lo
	v_mov_b32_e32 v23, 0
	s_delay_alu instid0(VALU_DEP_2) | instskip(NEXT) | instid1(VALU_DEP_1)
	v_lshrrev_b32_e32 v1, 16, v1
	v_add_nc_u32_e32 v22, ttmp9, v1
	s_wait_kmcnt 0x0
	s_delay_alu instid0(VALU_DEP_1)
	v_cmpx_gt_u64_e64 s[12:13], v[22:23]
	s_cbranch_execz .LBB0_15
; %bb.1:
	s_clause 0x1
	s_load_b128 s[4:7], s[0:1], 0x18
	s_load_b64 s[12:13], s[0:1], 0x0
	v_mul_lo_u16 v1, 0x5b, v1
	s_delay_alu instid0(VALU_DEP_1) | instskip(NEXT) | instid1(VALU_DEP_1)
	v_sub_nc_u16 v7, v0, v1
	v_and_b32_e32 v93, 0xffff, v7
	s_delay_alu instid0(VALU_DEP_1)
	v_lshlrev_b32_e32 v73, 2, v93
	s_wait_kmcnt 0x0
	s_load_b128 s[8:11], s[4:5], 0x0
	s_clause 0xb
	global_load_b32 v98, v73, s[12:13]
	global_load_b32 v96, v73, s[12:13] offset:588
	global_load_b32 v94, v73, s[12:13] offset:1176
	;; [unrolled: 1-line block ×11, first 2 shown]
	s_wait_kmcnt 0x0
	v_mad_co_u64_u32 v[0:1], null, s10, v22, 0
	v_mad_co_u64_u32 v[2:3], null, s8, v93, 0
	s_mul_u64 s[2:3], s[8:9], 0x93
	s_delay_alu instid0(VALU_DEP_1) | instskip(NEXT) | instid1(VALU_DEP_2)
	v_mad_co_u64_u32 v[4:5], null, s11, v22, v[1:2]
	v_mov_b32_e32 v1, v3
	s_delay_alu instid0(VALU_DEP_1) | instskip(NEXT) | instid1(VALU_DEP_3)
	v_mad_co_u64_u32 v[5:6], null, s9, v93, v[1:2]
	v_dual_mov_b32 v1, v4 :: v_dual_add_nc_u32 v4, 0xd00, v73
	s_delay_alu instid0(VALU_DEP_1) | instskip(NEXT) | instid1(VALU_DEP_3)
	v_lshlrev_b64_e32 v[0:1], 2, v[0:1]
	v_mov_b32_e32 v3, v5
	s_delay_alu instid0(VALU_DEP_1) | instskip(NEXT) | instid1(VALU_DEP_3)
	v_lshlrev_b64_e32 v[2:3], 2, v[2:3]
	v_add_co_u32 v0, vcc_lo, s14, v0
	s_delay_alu instid0(VALU_DEP_4) | instskip(SKIP_1) | instid1(VALU_DEP_2)
	v_add_co_ci_u32_e32 v1, vcc_lo, s15, v1, vcc_lo
	s_lshl_b64 s[14:15], s[2:3], 2
	v_add_co_u32 v0, vcc_lo, v0, v2
	s_wait_alu 0xfffd
	s_delay_alu instid0(VALU_DEP_2)
	v_add_co_ci_u32_e32 v1, vcc_lo, v1, v3, vcc_lo
	v_add_co_u32 v20, s2, s12, v73
	s_wait_alu 0xfffe
	v_add_co_u32 v2, vcc_lo, v0, s14
	s_wait_alu 0xfffd
	v_add_co_ci_u32_e32 v3, vcc_lo, s15, v1, vcc_lo
	global_load_b32 v5, v[0:1], off
	v_add_co_u32 v0, vcc_lo, v2, s14
	s_wait_alu 0xfffd
	v_add_co_ci_u32_e32 v1, vcc_lo, s15, v3, vcc_lo
	global_load_b32 v6, v[2:3], off
	global_load_b32 v74, v73, s[12:13] offset:7056
	global_load_b32 v8, v[0:1], off
	v_add_co_u32 v0, vcc_lo, v0, s14
	s_wait_alu 0xfffd
	v_add_co_ci_u32_e32 v1, vcc_lo, s15, v1, vcc_lo
	v_add_co_ci_u32_e64 v21, null, s13, 0, s2
	s_delay_alu instid0(VALU_DEP_3) | instskip(SKIP_1) | instid1(VALU_DEP_3)
	v_add_co_u32 v2, vcc_lo, v0, s14
	s_wait_alu 0xfffd
	v_add_co_ci_u32_e32 v3, vcc_lo, s15, v1, vcc_lo
	global_load_b32 v9, v[0:1], off
	v_add_co_u32 v0, vcc_lo, v2, s14
	s_wait_alu 0xfffd
	v_add_co_ci_u32_e32 v1, vcc_lo, s15, v3, vcc_lo
	global_load_b32 v10, v[2:3], off
	global_load_b32 v11, v[0:1], off
	v_add_co_u32 v0, vcc_lo, v0, s14
	s_wait_alu 0xfffd
	v_add_co_ci_u32_e32 v1, vcc_lo, s15, v1, vcc_lo
	s_delay_alu instid0(VALU_DEP_2) | instskip(SKIP_1) | instid1(VALU_DEP_2)
	v_add_co_u32 v2, vcc_lo, v0, s14
	s_wait_alu 0xfffd
	v_add_co_ci_u32_e32 v3, vcc_lo, s15, v1, vcc_lo
	global_load_b32 v12, v[0:1], off
	global_load_b32 v13, v[2:3], off
	v_add_co_u32 v0, vcc_lo, v2, s14
	s_wait_alu 0xfffd
	v_add_co_ci_u32_e32 v1, vcc_lo, s15, v3, vcc_lo
	s_delay_alu instid0(VALU_DEP_2) | instskip(SKIP_1) | instid1(VALU_DEP_2)
	v_add_co_u32 v2, vcc_lo, v0, s14
	s_wait_alu 0xfffd
	v_add_co_ci_u32_e32 v3, vcc_lo, s15, v1, vcc_lo
	global_load_b32 v14, v[0:1], off
	v_add_co_u32 v0, vcc_lo, v2, s14
	s_wait_alu 0xfffd
	v_add_co_ci_u32_e32 v1, vcc_lo, s15, v3, vcc_lo
	global_load_b32 v15, v[2:3], off
	;; [unrolled: 4-line block ×4, first 2 shown]
	global_load_b32 v18, v[0:1], off
	s_load_b64 s[10:11], s[0:1], 0x38
	s_load_b128 s[4:7], s[6:7], 0x0
	v_add_nc_u32_e32 v2, 0x400, v73
	v_add_nc_u32_e32 v3, 0x800, v73
	v_cmp_gt_u16_e32 vcc_lo, 56, v7
	s_wait_loadcnt 0x19
	v_lshrrev_b32_e32 v100, 16, v98
	s_wait_loadcnt 0x18
	v_lshrrev_b32_e32 v99, 16, v96
	;; [unrolled: 2-line block ×13, first 2 shown]
	v_mul_f16_e32 v23, v100, v5
	s_wait_loadcnt 0xc
	v_lshrrev_b32_e32 v25, 16, v6
	s_delay_alu instid0(VALU_DEP_3)
	v_mul_f16_e32 v24, v100, v19
	v_mul_f16_e32 v26, v99, v6
	v_fma_f16 v19, v98, v19, -v23
	s_wait_loadcnt 0xa
	v_lshrrev_b32_e32 v23, 16, v8
	v_lshrrev_b32_e32 v76, 16, v74
	v_fmac_f16_e32 v24, v98, v5
	v_mul_f16_e32 v5, v99, v25
	v_fma_f16 v25, v96, v25, -v26
	v_mul_f16_e32 v26, v97, v8
	s_delay_alu instid0(VALU_DEP_4) | instskip(NEXT) | instid1(VALU_DEP_4)
	v_pack_b32_f16 v19, v24, v19
	v_fmac_f16_e32 v5, v96, v6
	v_mul_f16_e32 v6, v97, v23
	s_wait_loadcnt 0x9
	v_lshrrev_b32_e32 v24, 16, v9
	v_mul_f16_e32 v27, v95, v9
	v_fma_f16 v23, v94, v23, -v26
	v_pack_b32_f16 v5, v5, v25
	v_fmac_f16_e32 v6, v94, v8
	v_mul_f16_e32 v8, v95, v24
	s_wait_loadcnt 0x8
	v_lshrrev_b32_e32 v25, 16, v10
	v_fma_f16 v24, v91, v24, -v27
	v_mul_f16_e32 v26, v92, v10
	ds_store_2addr_b32 v73, v19, v5 offset1:147
	v_pack_b32_f16 v5, v6, v23
	v_fmac_f16_e32 v8, v91, v9
	v_mul_f16_e32 v6, v92, v25
	s_wait_loadcnt 0x7
	v_lshrrev_b32_e32 v9, 16, v11
	v_mul_f16_e32 v19, v90, v11
	v_fma_f16 v23, v89, v25, -v26
	v_pack_b32_f16 v8, v8, v24
	v_fmac_f16_e32 v6, v89, v10
	v_mul_f16_e32 v10, v90, v9
	v_fma_f16 v9, v87, v9, -v19
	s_wait_loadcnt 0x6
	v_lshrrev_b32_e32 v19, 16, v12
	v_mul_f16_e32 v24, v88, v12
	ds_store_2addr_b32 v2, v5, v8 offset0:38 offset1:185
	v_pack_b32_f16 v5, v6, v23
	v_fmac_f16_e32 v10, v87, v11
	v_mul_f16_e32 v6, v88, v19
	s_wait_loadcnt 0x5
	v_lshrrev_b32_e32 v8, 16, v13
	v_mul_f16_e32 v11, v86, v13
	v_fma_f16 v19, v85, v19, -v24
	v_pack_b32_f16 v9, v10, v9
	v_fmac_f16_e32 v6, v85, v12
	v_mul_f16_e32 v10, v86, v8
	v_fma_f16 v8, v84, v8, -v11
	s_wait_loadcnt 0x4
	v_lshrrev_b32_e32 v11, 16, v14
	v_mul_f16_e32 v12, v83, v14
	ds_store_2addr_b32 v3, v5, v9 offset0:76 offset1:223
	v_pack_b32_f16 v9, v6, v19
	v_fmac_f16_e32 v10, v84, v13
	v_mul_f16_e32 v5, v83, v11
	s_wait_loadcnt 0x3
	v_lshrrev_b32_e32 v6, 16, v15
	v_fma_f16 v11, v82, v11, -v12
	v_mul_f16_e32 v12, v81, v15
	v_pack_b32_f16 v8, v10, v8
	v_fmac_f16_e32 v5, v82, v14
	v_mul_f16_e32 v10, v81, v6
	s_wait_loadcnt 0x2
	v_lshrrev_b32_e32 v13, 16, v16
	v_fma_f16 v6, v80, v6, -v12
	v_mul_f16_e32 v12, v79, v16
	v_pack_b32_f16 v11, v5, v11
	v_fmac_f16_e32 v10, v80, v15
	s_wait_loadcnt 0x1
	v_lshrrev_b32_e32 v5, 16, v17
	s_wait_loadcnt 0x0
	v_lshrrev_b32_e32 v15, 16, v18
	v_mul_f16_e32 v14, v79, v13
	v_fma_f16 v12, v78, v13, -v12
	v_mul_f16_e32 v13, v77, v17
	v_pack_b32_f16 v10, v10, v6
	v_mul_f16_e32 v6, v77, v5
	v_mul_f16_e32 v19, v76, v15
	;; [unrolled: 1-line block ×3, first 2 shown]
	v_fma_f16 v13, v75, v5, -v13
	v_fmac_f16_e32 v14, v78, v16
	v_fmac_f16_e32 v6, v75, v17
	;; [unrolled: 1-line block ×3, first 2 shown]
	v_fma_f16 v15, v74, v15, -v23
	v_add_nc_u32_e32 v5, 0x1200, v73
	v_pack_b32_f16 v12, v14, v12
	v_pack_b32_f16 v13, v6, v13
	v_add_nc_u32_e32 v6, 0x1600, v73
	v_pack_b32_f16 v14, v19, v15
	ds_store_2addr_b32 v4, v9, v8 offset0:50 offset1:197
	ds_store_2addr_b32 v5, v11, v10 offset0:24 offset1:171
	;; [unrolled: 1-line block ×3, first 2 shown]
	ds_store_b32 v73, v14 offset:7056
	s_and_saveexec_b32 s3, vcc_lo
	s_cbranch_execz .LBB0_3
; %bb.2:
	v_mad_co_u64_u32 v[0:1], null, 0xffffe5dc, s8, v[0:1]
	s_mul_i32 s2, s9, 0xffffe5dc
	v_add_nc_u32_e32 v36, 0xe00, v73
	s_wait_alu 0xfffe
	s_sub_co_i32 s2, s2, s8
	s_wait_alu 0xfffe
	s_delay_alu instid0(VALU_DEP_2) | instskip(NEXT) | instid1(VALU_DEP_3)
	v_add_nc_u32_e32 v1, s2, v1
	v_add_co_u32 v7, s2, v0, s14
	s_wait_alu 0xf1ff
	s_delay_alu instid0(VALU_DEP_2)
	v_add_co_ci_u32_e64 v8, s2, s15, v1, s2
	s_clause 0x7
	global_load_b32 v9, v[20:21], off offset:364
	global_load_b32 v10, v[20:21], off offset:952
	;; [unrolled: 1-line block ×8, first 2 shown]
	global_load_b32 v17, v[0:1], off
	global_load_b32 v18, v[7:8], off
	s_clause 0x3
	global_load_b32 v19, v[20:21], off offset:5068
	global_load_b32 v23, v[20:21], off offset:5656
	;; [unrolled: 1-line block ×4, first 2 shown]
	v_add_co_u32 v0, s2, v7, s14
	s_wait_alu 0xf1ff
	v_add_co_ci_u32_e64 v1, s2, s15, v8, s2
	global_load_b32 v26, v[20:21], off offset:7420
	v_add_co_u32 v7, s2, v0, s14
	s_wait_alu 0xf1ff
	v_add_co_ci_u32_e64 v8, s2, s15, v1, s2
	global_load_b32 v27, v[0:1], off
	v_add_co_u32 v0, s2, v7, s14
	s_wait_alu 0xf1ff
	v_add_co_ci_u32_e64 v1, s2, s15, v8, s2
	global_load_b32 v28, v[7:8], off
	global_load_b32 v29, v[0:1], off
	v_add_co_u32 v0, s2, v0, s14
	s_wait_alu 0xf1ff
	v_add_co_ci_u32_e64 v1, s2, s15, v1, s2
	s_delay_alu instid0(VALU_DEP_2) | instskip(SKIP_1) | instid1(VALU_DEP_2)
	v_add_co_u32 v7, s2, v0, s14
	s_wait_alu 0xf1ff
	v_add_co_ci_u32_e64 v8, s2, s15, v1, s2
	global_load_b32 v30, v[0:1], off
	v_add_co_u32 v0, s2, v7, s14
	s_wait_alu 0xf1ff
	v_add_co_ci_u32_e64 v1, s2, s15, v8, s2
	global_load_b32 v31, v[7:8], off
	global_load_b32 v32, v[0:1], off
	v_add_co_u32 v0, s2, v0, s14
	s_wait_alu 0xf1ff
	v_add_co_ci_u32_e64 v1, s2, s15, v1, s2
	s_delay_alu instid0(VALU_DEP_2) | instskip(SKIP_1) | instid1(VALU_DEP_2)
	v_add_co_u32 v7, s2, v0, s14
	s_wait_alu 0xf1ff
	v_add_co_ci_u32_e64 v8, s2, s15, v1, s2
	global_load_b32 v33, v[0:1], off
	v_add_co_u32 v0, s2, v7, s14
	s_wait_alu 0xf1ff
	v_add_co_ci_u32_e64 v1, s2, s15, v8, s2
	global_load_b32 v34, v[7:8], off
	;; [unrolled: 4-line block ×4, first 2 shown]
	global_load_b32 v0, v[0:1], off
	v_add_nc_u32_e32 v1, 0x600, v73
	v_add_nc_u32_e32 v8, 0xa00, v73
	s_wait_loadcnt 0x19
	v_lshrrev_b32_e32 v37, 16, v9
	s_wait_loadcnt 0x18
	v_lshrrev_b32_e32 v38, 16, v10
	;; [unrolled: 2-line block ×9, first 2 shown]
	v_mul_f16_e32 v50, v37, v17
	s_wait_loadcnt 0x10
	v_lshrrev_b32_e32 v51, 16, v18
	v_mul_f16_e32 v53, v38, v18
	s_wait_loadcnt 0xf
	v_lshrrev_b32_e32 v45, 16, v19
	v_mul_f16_e32 v37, v37, v46
	v_fma_f16 v46, v9, v46, -v50
	s_wait_loadcnt 0xe
	v_lshrrev_b32_e32 v47, 16, v23
	s_wait_loadcnt 0xd
	v_lshrrev_b32_e32 v48, 16, v24
	;; [unrolled: 2-line block ×3, first 2 shown]
	v_fmac_f16_e32 v37, v9, v17
	v_mul_f16_e32 v9, v38, v51
	v_fma_f16 v38, v10, v51, -v53
	s_wait_loadcnt 0xb
	v_lshrrev_b32_e32 v52, 16, v26
	s_wait_loadcnt 0xa
	v_lshrrev_b32_e32 v17, 16, v27
	v_mul_f16_e32 v50, v39, v27
	v_fmac_f16_e32 v9, v10, v18
	v_pack_b32_f16 v37, v37, v46
	s_delay_alu instid0(VALU_DEP_4)
	v_mul_f16_e32 v10, v39, v17
	s_wait_loadcnt 0x9
	v_lshrrev_b32_e32 v18, 16, v28
	v_mul_f16_e32 v39, v40, v28
	v_fma_f16 v17, v11, v17, -v50
	v_pack_b32_f16 v9, v9, v38
	v_fmac_f16_e32 v10, v11, v27
	v_mul_f16_e32 v11, v40, v18
	s_wait_loadcnt 0x8
	v_lshrrev_b32_e32 v27, 16, v29
	v_fma_f16 v18, v12, v18, -v39
	v_mul_f16_e32 v38, v41, v29
	ds_store_2addr_b32 v73, v37, v9 offset0:91 offset1:238
	v_pack_b32_f16 v9, v10, v17
	v_fmac_f16_e32 v11, v12, v28
	v_mul_f16_e32 v10, v41, v27
	s_wait_loadcnt 0x7
	v_lshrrev_b32_e32 v12, 16, v30
	v_mul_f16_e32 v17, v42, v30
	v_fma_f16 v27, v13, v27, -v38
	v_pack_b32_f16 v11, v11, v18
	v_fmac_f16_e32 v10, v13, v29
	v_mul_f16_e32 v13, v42, v12
	v_fma_f16 v12, v14, v12, -v17
	s_wait_loadcnt 0x6
	v_lshrrev_b32_e32 v17, 16, v31
	ds_store_2addr_b32 v1, v9, v11 offset0:1 offset1:148
	v_pack_b32_f16 v1, v10, v27
	v_fmac_f16_e32 v13, v14, v30
	s_wait_loadcnt 0x5
	v_lshrrev_b32_e32 v10, 16, v32
	v_mul_f16_e32 v18, v43, v31
	v_mul_f16_e32 v9, v43, v17
	;; [unrolled: 1-line block ×3, first 2 shown]
	v_pack_b32_f16 v12, v13, v12
	v_mul_f16_e32 v13, v44, v10
	v_fma_f16 v11, v15, v17, -v18
	v_fmac_f16_e32 v9, v15, v31
	s_wait_loadcnt 0x4
	v_lshrrev_b32_e32 v15, 16, v33
	v_fma_f16 v10, v16, v10, -v14
	v_mul_f16_e32 v14, v45, v33
	v_fmac_f16_e32 v13, v16, v32
	s_wait_loadcnt 0x3
	v_lshrrev_b32_e32 v16, 16, v34
	v_pack_b32_f16 v9, v9, v11
	v_mul_f16_e32 v11, v45, v15
	v_fma_f16 v14, v19, v15, -v14
	v_mul_f16_e32 v15, v47, v34
	v_pack_b32_f16 v10, v13, v10
	v_mul_f16_e32 v13, v47, v16
	v_fmac_f16_e32 v11, v19, v33
	s_wait_loadcnt 0x2
	v_lshrrev_b32_e32 v17, 16, v35
	v_fma_f16 v15, v23, v16, -v15
	v_mul_f16_e32 v16, v48, v35
	v_fmac_f16_e32 v13, v23, v34
	s_wait_loadcnt 0x1
	v_lshrrev_b32_e32 v18, 16, v7
	s_wait_loadcnt 0x0
	v_lshrrev_b32_e32 v19, 16, v0
	v_pack_b32_f16 v11, v11, v14
	v_mul_f16_e32 v14, v48, v17
	v_fma_f16 v16, v24, v17, -v16
	v_mul_f16_e32 v17, v49, v7
	v_pack_b32_f16 v13, v13, v15
	v_mul_f16_e32 v15, v49, v18
	v_mul_f16_e32 v23, v52, v19
	;; [unrolled: 1-line block ×3, first 2 shown]
	v_fmac_f16_e32 v14, v24, v35
	v_fma_f16 v17, v25, v18, -v17
	v_fmac_f16_e32 v15, v25, v7
	v_fmac_f16_e32 v23, v26, v0
	v_fma_f16 v0, v26, v19, -v27
	v_add_nc_u32_e32 v7, 0x1300, v73
	v_pack_b32_f16 v14, v14, v16
	v_pack_b32_f16 v15, v15, v17
	v_add_nc_u32_e32 v16, 0x1800, v73
	v_pack_b32_f16 v0, v23, v0
	ds_store_2addr_b32 v8, v1, v12 offset0:39 offset1:186
	ds_store_2addr_b32 v36, v9, v10 offset0:77 offset1:224
	;; [unrolled: 1-line block ×4, first 2 shown]
	ds_store_b32 v73, v0 offset:7420
.LBB0_3:
	s_wait_alu 0xfffe
	s_or_b32 exec_lo, exec_lo, s3
	global_wb scope:SCOPE_SE
	s_wait_dscnt 0x0
	s_wait_kmcnt 0x0
	s_barrier_signal -1
	s_barrier_wait -1
	global_inv scope:SCOPE_SE
	ds_load_2addr_b32 v[12:13], v73 offset1:147
	ds_load_2addr_b32 v[27:28], v2 offset0:38 offset1:185
	ds_load_2addr_b32 v[18:19], v3 offset0:76 offset1:223
	ds_load_2addr_b32 v[16:17], v4 offset0:50 offset1:197
	ds_load_2addr_b32 v[25:26], v5 offset0:24 offset1:171
	ds_load_2addr_b32 v[14:15], v6 offset0:62 offset1:209
	ds_load_b32 v102, v73 offset:7056
	s_load_b64 s[0:1], s[0:1], 0x8
	v_mov_b32_e32 v4, 0
                                        ; implicit-def: $vgpr29
                                        ; implicit-def: $vgpr1
                                        ; implicit-def: $vgpr3
                                        ; implicit-def: $vgpr7
                                        ; implicit-def: $vgpr9
                                        ; implicit-def: $vgpr11
	s_and_saveexec_b32 s2, vcc_lo
	s_cbranch_execz .LBB0_5
; %bb.4:
	v_add_nc_u32_e32 v0, 0x600, v73
	v_add_nc_u32_e32 v1, 0xa00, v73
	;; [unrolled: 1-line block ×5, first 2 shown]
	ds_load_2addr_b32 v[4:5], v73 offset0:91 offset1:238
	ds_load_2addr_b32 v[10:11], v0 offset0:1 offset1:148
	;; [unrolled: 1-line block ×6, first 2 shown]
	ds_load_b32 v29, v73 offset:7420
.LBB0_5:
	s_wait_alu 0xfffe
	s_or_b32 exec_lo, exec_lo, s2
	s_wait_dscnt 0x0
	v_pk_add_f16 v31, v5, v29 neg_lo:[0,1] neg_hi:[0,1]
	v_pk_add_f16 v30, v29, v5
	v_pk_add_f16 v33, v10, v1 neg_lo:[0,1] neg_hi:[0,1]
	v_pk_add_f16 v32, v1, v10
	v_pk_add_f16 v23, v12, v13
	v_lshrrev_b32_e32 v105, 16, v31
	v_pk_mul_f16 v37, 0x3b15388b, v30
	v_lshrrev_b32_e32 v104, 16, v33
	v_pk_mul_f16 v64, 0x388bb5ac, v32
	v_pk_add_f16 v23, v23, v27
	v_mul_f16_e32 v53, 0xb94e, v105
	v_mul_f16_e32 v44, 0xbbf1, v105
	;; [unrolled: 1-line block ×5, first 2 shown]
	v_fmamk_f16 v35, v30, 0xb9fd, v53
	v_fmamk_f16 v24, v30, 0x2fb7, v44
	;; [unrolled: 1-line block ×3, first 2 shown]
	v_mul_f16_e32 v54, 0x3bf1, v104
	v_fmamk_f16 v41, v32, 0xbbc4, v45
	v_add_f16_e32 v38, v35, v4
	v_pk_add_f16 v35, v11, v0 neg_lo:[0,1] neg_hi:[0,1]
	v_add_f16_e32 v24, v24, v4
	v_add_f16_e32 v36, v34, v4
	v_fmamk_f16 v42, v32, 0xb9fd, v51
	v_pk_add_f16 v34, v0, v11
	v_lshrrev_b32_e32 v103, 16, v35
	v_fmamk_f16 v43, v32, 0x2fb7, v54
	v_add_f16_e32 v24, v41, v24
	v_add_f16_e32 v41, v42, v36
	v_pk_add_f16 v36, v8, v3 neg_lo:[0,1] neg_hi:[0,1]
	v_mul_f16_e32 v60, 0xba95, v103
	v_add_f16_e32 v42, v43, v38
	v_mul_f16_e32 v47, 0x3b7b, v103
	v_mul_f16_e32 v55, 0x3770, v103
	v_lshrrev_b32_e32 v70, 16, v36
	v_fmamk_f16 v50, v34, 0x388b, v60
	v_pk_fma_f16 v39, 0xba95b770, v31, v37 op_sel:[0,0,1] op_sel_hi:[1,1,0]
	v_fmamk_f16 v46, v34, 0xb5ac, v47
	v_fmamk_f16 v49, v34, 0x3b15, v55
	v_pk_add_f16 v38, v3, v8
	v_mul_f16_e32 v52, 0x3770, v70
	v_add_f16_e32 v50, v50, v42
	v_mul_f16_e32 v59, 0xbbf1, v70
	v_mul_f16_e32 v61, 0x33a8, v70
	v_pk_add_f16 v42, v9, v2 neg_lo:[0,1] neg_hi:[0,1]
	v_pk_fma_f16 v40, 0xbb7bba95, v33, v64 op_sel:[0,0,1] op_sel_hi:[1,1,0]
	v_pk_mul_f16 v65, 0x2fb7bbc4, v34
	v_add_f16_e32 v24, v46, v24
	v_add_f16_e32 v49, v49, v41
	v_fmamk_f16 v41, v38, 0x3b15, v52
	v_fmamk_f16 v56, v38, 0x2fb7, v59
	;; [unrolled: 1-line block ×3, first 2 shown]
	v_lshrrev_b32_e32 v72, 16, v42
	v_lshrrev_b32_e32 v58, 16, v39
	v_pk_fma_f16 v43, 0xb3a8bbf1, v35, v65 op_sel:[0,0,1] op_sel_hi:[1,1,0]
	v_pk_mul_f16 v68, 0xb5acb9fd, v38
	v_add_f16_e32 v24, v41, v24
	v_pk_add_f16 v41, v2, v9
	v_add_f16_e32 v49, v56, v49
	v_add_f16_e32 v69, v57, v50
	v_mul_f16_e32 v56, 0xba95, v72
	v_mul_f16_e32 v63, 0x33a8, v72
	v_add_f16_e32 v50, v58, v4
	v_lshrrev_b32_e32 v58, 16, v40
	v_pk_add_f16 v23, v23, v28
	v_pk_fma_f16 v46, 0x394ebb7b, v36, v68 op_sel:[0,0,1] op_sel_hi:[1,1,0]
	v_pk_mul_f16 v71, 0xb9fd2fb7, v41
	v_fmamk_f16 v62, v41, 0x388b, v56
	v_fmamk_f16 v66, v41, 0xbbc4, v63
	v_add_f16_e32 v50, v58, v50
	v_lshrrev_b32_e32 v58, 16, v43
	v_pk_add_f16 v23, v23, v18
	v_pk_fma_f16 v57, 0x3bf1b94e, v42, v71 op_sel:[0,0,1] op_sel_hi:[1,1,0]
	v_add_f16_e32 v107, v62, v24
	v_add_f16_e32 v119, v66, v49
	v_pk_add_f16 v49, v7, v6
	v_add_f16_e32 v24, v58, v50
	v_lshrrev_b32_e32 v58, 16, v46
	v_pk_add_f16 v50, v6, v7 neg_lo:[0,1] neg_hi:[0,1]
	v_pk_add_f16 v23, v23, v19
	v_pk_mul_f16 v101, 0xbbc43b15, v49
	v_mul_f16_e32 v67, 0x3770, v72
	v_add_f16_e32 v24, v58, v24
	v_lshrrev_b32_e32 v62, 16, v57
	v_pk_add_f16 v23, v23, v16
	v_lshrrev_b32_e32 v106, 16, v50
	v_pk_add_f16 v117, v13, v102 neg_lo:[0,1] neg_hi:[0,1]
	v_pk_fma_f16 v58, 0x3770b3a8, v50, v101 op_sel:[0,0,1] op_sel_hi:[1,1,0]
	v_fmamk_f16 v108, v41, 0x3b15, v67
	v_add_f16_e32 v24, v62, v24
	v_pk_add_f16 v23, v23, v17
	v_mul_f16_e32 v62, 0xb94e, v106
	v_lshrrev_b32_e32 v121, 16, v117
	v_pk_add_f16 v113, v27, v15 neg_lo:[0,1] neg_hi:[0,1]
	v_lshrrev_b32_e32 v109, 16, v58
	v_add_f16_e32 v120, v108, v69
	v_pk_add_f16 v23, v23, v25
	v_fmamk_f16 v108, v49, 0xb9fd, v62
	v_pk_add_f16 v123, v102, v13
	v_mul_f16_e32 v124, 0xb94e, v121
	v_lshrrev_b32_e32 v126, 16, v113
	v_add_f16_e32 v24, v109, v24
	v_pk_add_f16 v125, v23, v26
	v_add_f16_e32 v23, v108, v107
	v_lshrrev_b32_e32 v107, 16, v123
	v_fma_f16 v110, v123, 0xb9fd, -v124
	v_mul_f16_e32 v109, 0xb94e, v117
	v_pk_add_f16 v13, v15, v27
	v_mul_f16_e32 v112, 0x3bf1, v126
	v_pk_add_f16 v116, v28, v14 neg_lo:[0,1] neg_hi:[0,1]
	v_pk_add_f16 v27, v14, v28
	v_pk_add_f16 v28, v26, v18
	v_pk_add_f16 v118, v18, v26 neg_lo:[0,1] neg_hi:[0,1]
	v_lshrrev_b32_e32 v108, 16, v12
	v_add_f16_e32 v26, v12, v110
	v_lshrrev_b32_e32 v127, 16, v116
	v_fmamk_f16 v111, v107, 0xb9fd, v109
	v_fma_f16 v114, v13, 0x2fb7, -v112
	v_lshrrev_b32_e32 v110, 16, v13
	v_mul_f16_e64 v128, 0x3bf1, v113
	v_mul_f16_e64 v129, 0xba95, v127
	v_add_f16_e32 v115, v108, v111
	v_add_f16_e32 v26, v114, v26
	v_lshrrev_b32_e32 v130, 16, v118
	v_fma_f16 v114, 0x2fb7, v110, v128
	v_lshrrev_b32_e32 v111, 16, v27
	v_mul_f16_e64 v132, 0xba95, v116
	v_pk_add_f16 v18, v25, v19
	v_fma_f16 v131, v27, 0x388b, -v129
	v_mul_f16_e64 v133, 0x33a8, v130
	v_pk_add_f16 v134, v19, v25 neg_lo:[0,1] neg_hi:[0,1]
	v_add_f16_e32 v25, v114, v115
	v_fma_f16 v114, 0x388b, v111, v132
	v_add_f16_e64 v26, v131, v26
	v_fma_f16 v115, v28, 0xbbc4, -v133
	v_lshrrev_b32_e32 v19, 16, v28
	v_mul_f16_e64 v131, 0x33a8, v118
	v_lshrrev_b32_e32 v135, 16, v134
	v_add_f16_e32 v25, v114, v25
	v_pk_add_f16 v114, v16, v17 neg_lo:[0,1] neg_hi:[0,1]
	v_add_f16_e32 v26, v115, v26
	v_fma_f16 v136, 0xbbc4, v19, v131
	v_mul_f16_e64 v137, 0x3770, v135
	v_lshrrev_b32_e32 v115, 16, v18
	v_mul_f16_e64 v138, 0x3770, v134
	v_lshrrev_b32_e32 v139, 16, v114
	v_pk_add_f16 v16, v17, v16
	v_mul_f16_e32 v66, 0x3a95, v106
	v_add_f16_e64 v25, v136, v25
	v_fma_f16 v136, v18, 0x3b15, -v137
	v_fma_f16 v140, 0x3b15, v115, v138
	v_mul_f16_e64 v141, 0xbb7b, v139
	v_lshrrev_b32_e32 v17, 16, v16
	v_mul_f16_e64 v142, 0xbb7b, v114
	v_fmamk_f16 v122, v49, 0x388b, v66
	v_mul_f16_e32 v69, 0xbb7b, v106
	v_pk_add_f16 v14, v125, v14
	v_add_f16_e64 v26, v136, v26
	v_add_f16_e64 v25, v140, v25
	v_fma_f16 v125, v16, 0xb5ac, -v141
	v_fma_f16 v136, 0xb5ac, v17, v142
	v_mul_lo_u16 v143, v93, 13
	v_fma_f16 v140, 0xb5ac, v49, v69
	v_pk_add_f16 v14, v14, v15
	v_add_f16_e32 v15, v125, v26
	v_add_f16_e64 v125, v136, v25
	v_add_f16_e32 v26, v122, v119
	v_and_b32_e32 v119, 0xffff, v143
	v_add_f16_e64 v25, v140, v120
	v_pk_add_f16 v14, v14, v102
	v_pack_b32_f16 v15, v15, v125
	v_mul_f16_e32 v120, 0xb770, v121
	v_lshlrev_b32_e32 v102, 2, v119
	global_wb scope:SCOPE_SE
	s_wait_kmcnt 0x0
	s_barrier_signal -1
	s_barrier_wait -1
	v_fma_f16 v119, v123, 0x3b15, -v120
	global_inv scope:SCOPE_SE
	ds_store_2addr_b32 v102, v14, v15 offset1:5
	v_fmac_f16_e32 v120, 0x3b15, v123
	v_mul_f16_e32 v15, 0xbbf1, v121
	v_pk_mul_f16 v122, 0x3b15388b, v123
	v_add_f16_e32 v14, v12, v119
	v_mul_f16_e32 v121, 0xbb7b, v121
	v_add_f16_e64 v140, v12, v120
	v_fma_f16 v120, v123, 0x2fb7, -v15
	v_fmac_f16_e32 v15, 0x2fb7, v123
	v_pk_fma_f16 v136, 0xba95b770, v117, v122 op_sel:[0,0,1] op_sel_hi:[1,1,0] neg_lo:[0,1,0] neg_hi:[0,1,0]
	v_pk_fma_f16 v119, 0xba95b770, v117, v122 op_sel:[0,0,1] op_sel_hi:[1,1,0]
	v_fma_f16 v125, v123, 0xb5ac, -v121
	v_fmac_f16_e32 v121, 0xb5ac, v123
	v_add_f16_e64 v144, v12, v15
	v_pk_mul_f16 v15, 0x388bb5ac, v13
	v_bfi_b32 v122, 0xffff, v119, v136
	v_fmac_f16_e32 v124, 0xb9fd, v123
	v_pk_mul_f16 v123, 0xbbc4, v123 op_sel_hi:[0,1]
	v_mul_f16_e64 v145, 0xba95, v126
	v_pk_fma_f16 v146, 0xbb7bba95, v113, v15 op_sel:[0,0,1] op_sel_hi:[1,1,0] neg_lo:[0,1,0] neg_hi:[0,1,0]
	v_pk_fma_f16 v147, 0xbb7bba95, v113, v15 op_sel:[0,0,1] op_sel_hi:[1,1,0]
	v_pk_add_f16 v122, v12, v122 op_sel:[1,0] op_sel_hi:[0,1]
	v_pk_add_f16 v143, v12, v119 op_sel:[1,0] op_sel_hi:[0,1]
	v_add_f16_e32 v119, v12, v120
	v_pk_fma_f16 v120, 0xb3a8, v117, v123 op_sel:[0,0,1] op_sel_hi:[0,1,0] neg_lo:[0,1,0] neg_hi:[0,1,0]
	v_pk_fma_f16 v123, 0xb3a8, v117, v123 op_sel:[0,0,1] op_sel_hi:[0,1,0]
	v_add_f16_e32 v15, v12, v121
	v_add_f16_e32 v121, v12, v124
	v_fma_f16 v124, v13, 0x388b, -v145
	v_bfi_b32 v148, 0xffff, v147, v146
	v_mul_f16_e64 v149, 0xba95, v117
	v_mul_f16_e64 v150, 0xbbf1, v117
	v_add_f16_e32 v125, v12, v125
	v_pk_add_f16 v120, v12, v120 op_sel:[1,0] op_sel_hi:[0,1]
	v_pk_add_f16 v12, v12, v123 op_sel:[1,0] op_sel_hi:[0,1]
	v_add_f16_e32 v14, v124, v14
	v_pk_add_f16 v122, v148, v122
	v_fma_f16 v123, 0x388b, v107, v149
	v_mul_f16_e64 v148, 0xbb7b, v113
	v_mul_f16_e64 v151, 0xb3a8, v126
	v_fma_f16 v124, 0x2fb7, v107, v150
	v_mul_f16_e64 v152, 0xb3a8, v113
	v_add_f16_e32 v123, v108, v123
	v_fma_f16 v153, 0xb5ac, v110, v148
	v_fma_f16 v154, v13, 0xbbc4, -v151
	v_add_f16_e32 v124, v108, v124
	v_fma_f16 v155, 0xbbc4, v110, v152
	v_mul_f16_e32 v117, 0xbb7b, v117
	v_mul_f16_e32 v126, 0x394e, v126
	v_add_f16_e64 v123, v153, v123
	v_add_f16_e64 v119, v154, v119
	v_add_f16_e64 v124, v155, v124
	v_fma_f16 v153, 0xb5ac, v107, v117
	v_mul_f16_e64 v154, 0x394e, v113
	v_fma_f16 v155, v13, 0xb9fd, -v126
	v_mul_f16_e64 v156, 0xbbf1, v127
	v_pk_mul_f16 v157, 0x2fb7bbc4, v27
	v_add_f16_e64 v153, v108, v153
	v_fma_f16 v158, 0xb9fd, v110, v154
	v_add_f16_e64 v125, v155, v125
	v_fma_f16 v155, v27, 0x2fb7, -v156
	v_pk_fma_f16 v159, 0xb3a8bbf1, v116, v157 op_sel:[0,0,1] op_sel_hi:[1,1,0] neg_lo:[0,1,0] neg_hi:[0,1,0]
	v_pk_fma_f16 v157, 0xb3a8bbf1, v116, v157 op_sel:[0,0,1] op_sel_hi:[1,1,0]
	v_add_f16_e64 v153, v158, v153
	v_mul_f16_e64 v158, 0xb3a8, v116
	v_mul_f16_e64 v160, 0x3b7b, v127
	v_add_f16_e64 v14, v155, v14
	v_bfi_b32 v155, 0xffff, v157, v159
	v_mul_f16_e64 v161, 0x3b7b, v116
	v_fma_f16 v162, 0xbbc4, v111, v158
	v_fma_f16 v163, v27, 0xb5ac, -v160
	v_mul_f16_e32 v127, 0x3770, v127
	v_pk_add_f16 v122, v155, v122
	v_fma_f16 v155, 0xb5ac, v111, v161
	v_add_f16_e64 v123, v162, v123
	v_add_f16_e64 v119, v163, v119
	v_fma_f16 v162, v27, 0x3b15, -v127
	v_pk_mul_f16 v163, 0xb5acb9fd, v28
	v_add_f16_e64 v124, v155, v124
	v_mul_f16_e64 v155, 0x3770, v116
	v_mul_f16_e64 v164, 0xbb7b, v130
	v_add_f16_e64 v125, v162, v125
	v_pk_fma_f16 v162, 0x394ebb7b, v118, v163 op_sel:[0,0,1] op_sel_hi:[1,1,0] neg_lo:[0,1,0] neg_hi:[0,1,0]
	v_pk_fma_f16 v163, 0x394ebb7b, v118, v163 op_sel:[0,0,1] op_sel_hi:[1,1,0]
	v_fma_f16 v165, 0x3b15, v111, v155
	v_mul_f16_e64 v167, 0x394e, v118
	v_fma_f16 v166, v28, 0xb5ac, -v164
	v_mul_f16_e64 v168, 0x3770, v130
	v_bfi_b32 v169, 0xffff, v163, v162
	v_add_f16_e64 v153, v165, v153
	v_fma_f16 v165, 0xb9fd, v19, v167
	v_add_f16_e64 v14, v166, v14
	v_fma_f16 v166, v28, 0x3b15, -v168
	v_pk_add_f16 v122, v169, v122
	v_mul_f16_e64 v169, 0x3770, v118
	v_mul_f16_e64 v130, 0xbbf1, v130
	v_add_f16_e64 v123, v165, v123
	v_pk_mul_f16 v165, 0xb9fd2fb7, v18
	v_add_f16_e64 v119, v166, v119
	v_fma_f16 v166, 0x3b15, v19, v169
	v_fma_f16 v170, v28, 0x2fb7, -v130
	v_mul_f16_e64 v171, 0xbbf1, v118
	v_mul_f16_e64 v172, 0xb94e, v135
	v_pk_fma_f16 v173, 0x3bf1b94e, v134, v165 op_sel:[0,0,1] op_sel_hi:[1,1,0] neg_lo:[0,1,0] neg_hi:[0,1,0]
	v_pk_fma_f16 v165, 0x3bf1b94e, v134, v165 op_sel:[0,0,1] op_sel_hi:[1,1,0]
	v_add_f16_e64 v124, v166, v124
	v_add_f16_e64 v125, v170, v125
	v_fma_f16 v166, 0x2fb7, v19, v171
	v_fma_f16 v170, v18, 0xb9fd, -v172
	v_bfi_b32 v174, 0xffff, v165, v173
	v_mul_f16_e64 v175, 0x3bf1, v134
	v_mul_f16_e64 v176, 0xba95, v135
	v_add_f16_e64 v153, v166, v153
	v_add_f16_e64 v14, v170, v14
	v_pk_add_f16 v122, v174, v122
	v_fma_f16 v166, 0x2fb7, v115, v175
	v_fma_f16 v170, v18, 0x388b, -v176
	v_mul_f16_e64 v174, 0xba95, v134
	v_mul_f16_e64 v135, 0x33a8, v135
	;; [unrolled: 1-line block ×3, first 2 shown]
	v_add_f16_e64 v123, v166, v123
	v_add_f16_e64 v119, v170, v119
	v_fma_f16 v166, 0x388b, v115, v174
	v_fma_f16 v170, v18, 0xbbc4, -v135
	v_fma_f16 v178, 0xbbc4, v115, v177
	v_mul_f16_e64 v179, 0xb3a8, v139
	v_pk_mul_f16 v180, 0xbbc43b15, v16
	v_add_f16_e64 v124, v166, v124
	v_add_f16_e64 v125, v170, v125
	;; [unrolled: 1-line block ×3, first 2 shown]
	v_fma_f16 v166, v16, 0xbbc4, -v179
	v_pk_fma_f16 v170, 0x3770b3a8, v114, v180 op_sel:[0,0,1] op_sel_hi:[1,1,0] neg_lo:[0,1,0] neg_hi:[0,1,0]
	v_pk_fma_f16 v178, 0x3770b3a8, v114, v180 op_sel:[0,0,1] op_sel_hi:[1,1,0]
	v_mul_f16_e64 v181, 0x3770, v114
	v_pk_mul_f16 v186, 0x3b15, v13 op_sel_hi:[0,1]
	v_add_f16_e64 v14, v166, v14
	v_mul_f16_e64 v182, 0xb94e, v139
	v_bfi_b32 v166, 0xffff, v178, v170
	v_fma_f16 v178, 0x3b15, v17, v181
	v_mul_f16_e64 v139, 0x3a95, v139
	v_fma_f16 v117, v107, 0xb5ac, -v117
	v_fma_f16 v109, v107, 0xb9fd, -v109
	v_pk_add_f16 v122, v166, v122
	v_add_f16_e64 v123, v178, v123
	v_pk_fma_f16 v166, 0x3770, v113, v186 op_sel:[0,0,1] op_sel_hi:[0,1,0] neg_lo:[0,1,0] neg_hi:[0,1,0]
	v_pk_fma_f16 v113, 0x3770, v113, v186 op_sel:[0,0,1] op_sel_hi:[0,1,0]
	v_pk_mul_f16 v178, 0xb9fd, v27 op_sel_hi:[0,1]
	v_fmac_f16_e32 v126, 0xb9fd, v13
	v_fmac_f16_e32 v112, 0x2fb7, v13
	v_pk_add_f16 v120, v166, v120
	v_pk_add_f16 v12, v113, v12
	v_pk_fma_f16 v113, 0xb94e, v116, v178 op_sel:[0,0,1] op_sel_hi:[0,1,0] neg_lo:[0,1,0] neg_hi:[0,1,0]
	v_pk_fma_f16 v116, 0xb94e, v116, v178 op_sel:[0,0,1] op_sel_hi:[0,1,0]
	v_pk_mul_f16 v166, 0x388b, v28 op_sel_hi:[0,1]
	v_fma_f16 v178, v16, 0x388b, -v139
	v_add_f16_e32 v109, v108, v109
	v_pk_add_f16 v113, v113, v120
	v_pk_add_f16 v12, v116, v12
	v_pk_fma_f16 v116, 0x3a95, v118, v166 op_sel:[0,0,1] op_sel_hi:[0,1,0] neg_lo:[0,1,0] neg_hi:[0,1,0]
	v_pk_fma_f16 v118, 0x3a95, v118, v166 op_sel:[0,0,1] op_sel_hi:[0,1,0]
	v_pk_mul_f16 v120, 0xb5ac, v18 op_sel_hi:[0,1]
	v_add_f16_e64 v125, v178, v125
	v_pack_b32_f16 v178, v14, v122
	v_pk_add_f16 v113, v116, v113
	v_pk_add_f16 v12, v118, v12
	v_pk_fma_f16 v116, 0xbb7b, v134, v120 op_sel:[0,0,1] op_sel_hi:[0,1,0] neg_lo:[0,1,0] neg_hi:[0,1,0]
	v_pk_fma_f16 v118, 0xbb7b, v134, v120 op_sel:[0,0,1] op_sel_hi:[0,1,0]
	v_pk_mul_f16 v120, 0x2fb7, v16 op_sel_hi:[0,1]
	v_mul_f16_e64 v183, 0xb9fd, v17
	v_fma_f16 v184, v16, 0xb9fd, -v182
	v_pk_add_f16 v14, v116, v113
	v_pk_add_f16 v12, v118, v12
	v_pk_fma_f16 v113, 0x3bf1, v114, v120 op_sel:[0,0,1] op_sel_hi:[0,1,0] neg_lo:[0,1,0] neg_hi:[0,1,0]
	v_pk_fma_f16 v116, 0x3bf1, v114, v120 op_sel:[0,0,1] op_sel_hi:[0,1,0]
	v_add_f16_e32 v15, v126, v15
	v_fmac_f16_e32 v127, 0x3b15, v27
	v_add_f16_e32 v112, v112, v121
	v_pk_add_f16 v14, v113, v14
	v_pk_add_f16 v113, v116, v12
	v_add_f16_e32 v12, v108, v117
	v_fma_f16 v116, v110, 0xb9fd, -v154
	v_fma_f16 v117, v111, 0x3b15, -v155
	v_fmac_f16_e64 v129, 0x388b, v27
	v_fma_f16 v185, 0xb94e, v114, v183
	v_add_f16_e64 v119, v184, v119
	v_add_f16_e32 v12, v116, v12
	v_fma_f16 v116, v110, 0x2fb7, -v128
	v_mul_f16_e64 v184, 0x3a95, v114
	v_add_f16_e32 v15, v127, v15
	v_add_f16_e64 v112, v129, v112
	v_add_f16_e32 v12, v117, v12
	v_add_f16_e32 v109, v116, v109
	v_fma_f16 v116, v111, 0x388b, -v132
	v_fmac_f16_e64 v130, 0x2fb7, v28
	v_fma_f16 v117, v19, 0x2fb7, -v171
	v_fmac_f16_e64 v133, 0xbbc4, v28
	v_add_f16_e64 v124, v185, v124
	v_add_f16_e32 v109, v116, v109
	v_fma_f16 v116, v19, 0xbbc4, -v131
	v_fma_f16 v185, 0x388b, v17, v184
	v_add_f16_e64 v15, v130, v15
	v_add_f16_e32 v12, v117, v12
	v_fmac_f16_e64 v135, 0xbbc4, v18
	v_add_f16_e64 v112, v133, v112
	v_add_f16_e32 v109, v116, v109
	v_fma_f16 v116, v115, 0xbbc4, -v177
	v_fmac_f16_e64 v137, 0x3b15, v18
	v_fma_f16 v117, v115, 0x3b15, -v138
	v_add_f16_e64 v153, v185, v153
	v_add_f16_e64 v15, v135, v15
	v_fmac_f16_e64 v139, 0x388b, v16
	v_add_f16_e32 v12, v116, v12
	v_add_f16_e64 v112, v137, v112
	v_fma_f16 v116, v17, 0x388b, -v184
	v_add_f16_e32 v109, v117, v109
	v_fmac_f16_e64 v141, 0xb5ac, v16
	v_fma_f16 v117, v17, 0xb5ac, -v142
	v_pack_b32_f16 v153, v125, v153
	v_add_f16_e64 v15, v139, v15
	v_add_f16_e32 v116, v116, v12
	v_mul_f16_e32 v12, 0xb770, v105
	v_add_f16_e64 v105, v141, v112
	v_add_f16_e32 v109, v117, v109
	v_lshrrev_b32_e32 v125, 16, v30
	v_mul_f16_e32 v112, 0xba95, v31
	v_mul_f16_e32 v117, 0xbbf1, v31
	;; [unrolled: 1-line block ×3, first 2 shown]
	v_alignbit_b32 v166, v123, v122, 16
	v_alignbit_b32 v154, v14, v113, 16
	;; [unrolled: 1-line block ×3, first 2 shown]
	v_pack_b32_f16 v138, v15, v116
	v_fmamk_f16 v15, v30, 0x3b15, v12
	v_mul_f16_e32 v14, 0xba95, v104
	v_pack_b32_f16 v139, v105, v109
	v_lshrrev_b32_e32 v109, 16, v4
	v_fma_f16 v105, v125, 0x388b, -v112
	v_lshrrev_b32_e32 v126, 16, v32
	v_mul_f16_e32 v113, 0xbb7b, v33
	v_fma_f16 v116, v125, 0x2fb7, -v117
	v_mul_f16_e32 v118, 0xb3a8, v33
	v_fma_f16 v122, v125, 0xb5ac, -v120
	v_mul_f16_e32 v121, 0x394e, v33
	v_pack_b32_f16 v185, v119, v124
	v_add_f16_e32 v15, v15, v4
	v_fmamk_f16 v104, v32, 0x388b, v14
	v_add_f16_e32 v105, v105, v109
	v_fma_f16 v119, v126, 0xb5ac, -v113
	v_add_f16_e32 v116, v116, v109
	v_fma_f16 v124, v126, 0xbbc4, -v118
	v_mul_f16_e32 v123, 0xb94e, v31
	v_add_f16_e32 v122, v122, v109
	v_fma_f16 v127, v126, 0xb9fd, -v121
	v_add_f16_e32 v104, v104, v15
	v_add_f16_e32 v105, v119, v105
	v_fma_f16 v119, v125, 0xb9fd, -v123
	v_add_f16_e64 v128, v124, v116
	v_add_f16_e64 v129, v127, v122
	v_mul_f16_e32 v124, 0x3bf1, v33
	v_mul_f16_e32 v15, 0xbbf1, v103
	v_lshrrev_b32_e32 v127, 16, v34
	v_mul_f16_e32 v116, 0xb3a8, v35
	v_add_f16_e32 v103, v119, v109
	v_fma_f16 v130, v126, 0x2fb7, -v124
	v_fma_f16 v131, 0x2fb7, v34, v15
	v_mul_f16_e32 v119, 0x3b7b, v35
	v_mul_f16_e32 v122, 0x3770, v35
	v_fma_f16 v132, v127, 0xbbc4, -v116
	v_add_f16_e64 v103, v130, v103
	v_add_f16_e64 v104, v131, v104
	v_fma_f16 v130, v127, 0xb5ac, -v119
	v_fma_f16 v131, v127, 0x3b15, -v122
	v_add_f16_e64 v105, v132, v105
	v_fma_f16 v132, v107, 0x388b, -v149
	v_fma_f16 v107, v107, 0x2fb7, -v150
	v_fmac_f16_e64 v145, 0x388b, v13
	v_add_f16_e64 v128, v130, v128
	v_add_f16_e64 v130, v131, v129
	;; [unrolled: 1-line block ×3, first 2 shown]
	v_fma_f16 v132, v110, 0xb5ac, -v148
	v_fmac_f16_e64 v151, 0xbbc4, v13
	v_fma_f16 v13, v110, 0xbbc4, -v152
	v_add_f16_e32 v107, v108, v107
	v_pk_add_f16 v110, v147, v143
	v_add_f16_e64 v131, v132, v131
	v_fmac_f16_e64 v156, 0x2fb7, v27
	v_fmac_f16_e64 v160, 0xb5ac, v27
	v_add_f16_e32 v13, v13, v107
	v_fma_f16 v27, v111, 0xbbc4, -v158
	v_fma_f16 v107, v111, 0xb5ac, -v161
	v_pk_add_f16 v110, v157, v110
	v_add_f16_e64 v129, v145, v140
	v_add_f16_e64 v132, v151, v144
	;; [unrolled: 1-line block ×3, first 2 shown]
	v_add_f16_e32 v13, v107, v13
	v_fma_f16 v107, v19, 0xb9fd, -v167
	v_fma_f16 v19, v19, 0x3b15, -v169
	v_fmac_f16_e64 v164, 0xb5ac, v28
	v_fmac_f16_e64 v168, 0x3b15, v28
	v_pk_add_f16 v28, v163, v110
	v_add_f16_e32 v27, v107, v27
	v_add_f16_e64 v107, v108, v136
	v_add_f16_e32 v13, v19, v13
	v_fma_f16 v19, v115, 0x2fb7, -v175
	v_fma_f16 v110, v115, 0x388b, -v174
	v_mul_f16_e32 v115, 0xb94e, v114
	v_add_f16_e64 v111, v156, v129
	v_add_f16_e64 v129, v160, v132
	;; [unrolled: 1-line block ×3, first 2 shown]
	v_add_f16_e32 v19, v19, v27
	v_pk_mul_f16 v27, 0x3770b3a8, v114
	v_bfi_b32 v114, 0xffff, v115, v28
	v_add_f16_e64 v108, v168, v129
	v_fmac_f16_e64 v172, 0xb9fd, v18
	v_fmac_f16_e64 v176, 0x388b, v18
	v_add_f16_e64 v18, v159, v107
	v_pack_b32_f16 v107, v110, v180
	v_bfi_b32 v13, 0xffff, v13, v27
	v_pk_add_f16 v27, v183, v114 neg_lo:[0,1] neg_hi:[0,1]
	v_pk_add_f16 v28, v165, v28
	v_add_f16_e64 v111, v164, v111
	v_add_f16_e64 v108, v176, v108
	;; [unrolled: 1-line block ×3, first 2 shown]
	v_fma_f16 v17, v17, 0x3b15, -v181
	v_mul_f16_e64 v129, 0xba95, v35
	v_pk_add_f16 v13, v107, v13
	v_bfi_b32 v27, 0xffff, v27, v28
	v_fmac_f16_e64 v182, 0xb9fd, v16
	v_add_f16_e64 v111, v172, v111
	v_fmac_f16_e64 v179, 0xbbc4, v16
	v_fma_f16 v16, v127, 0x388b, -v129
	v_add_f16_e64 v18, v173, v18
	v_add_f16_e32 v17, v17, v19
	v_pk_add_f16 v19, v27, v13
	v_add_f16_e64 v27, v182, v108
	v_mul_f16_e32 v13, 0xbb7b, v70
	v_add_f16_e32 v28, v16, v103
	v_add_f16_e64 v16, v179, v111
	v_add_f16_e64 v18, v170, v18
	v_alignbit_b32 v140, v17, v19, 16
	v_pack_b32_f16 v141, v27, v19
	v_lshrrev_b32_e32 v134, 16, v38
	v_mul_f16_e32 v17, 0x394e, v36
	v_mul_f16_e32 v70, 0x3770, v36
	v_fmamk_f16 v19, v38, 0xb5ac, v13
	v_mul_f16_e32 v115, 0xbbf1, v36
	v_pack_b32_f16 v142, v16, v18
	v_fma_f16 v16, v134, 0xb9fd, -v17
	v_fma_f16 v18, v134, 0x3b15, -v70
	v_add_f16_e32 v27, v19, v104
	v_fma_f16 v19, v134, 0x2fb7, -v115
	v_mul_f16_e64 v131, 0x33a8, v36
	v_add_f16_e32 v103, v16, v105
	v_add_f16_e64 v104, v18, v128
	v_mul_f16_e32 v16, 0xb94e, v72
	v_add_f16_e64 v72, v19, v130
	v_fma_f16 v18, v134, 0xbbc4, -v131
	v_lshrrev_b32_e32 v133, 16, v41
	v_mul_f16_e32 v19, 0x3bf1, v42
	v_mul_f16_e32 v111, 0xba95, v42
	v_fmamk_f16 v105, v41, 0xb9fd, v16
	v_mul_f16_e64 v128, 0x33a8, v42
	v_add_f16_e32 v107, v18, v28
	v_fma_f16 v18, v133, 0x2fb7, -v19
	v_fma_f16 v28, v133, 0x388b, -v111
	v_add_f16_e32 v27, v105, v27
	v_fma_f16 v105, v133, 0xbbc4, -v128
	v_mul_f16_e64 v132, 0x3770, v42
	v_add_f16_e32 v108, v18, v103
	v_mul_f16_e32 v18, 0xb3a8, v106
	v_add_f16_e32 v106, v28, v104
	v_pk_fma_f16 v28, 0xba95b770, v31, v37 op_sel:[0,0,1] op_sel_hi:[1,1,0] neg_lo:[0,1,0] neg_hi:[0,1,0]
	v_add_f16_e32 v105, v105, v72
	v_fma_f16 v72, v133, 0x3b15, -v132
	v_fmamk_f16 v37, v49, 0xbbc4, v18
	v_lshrrev_b32_e32 v136, 16, v49
	v_mul_f16_e32 v110, 0x3770, v50
	v_pk_fma_f16 v64, 0xbb7bba95, v33, v64 op_sel:[0,0,1] op_sel_hi:[1,1,0] neg_lo:[0,1,0] neg_hi:[0,1,0]
	v_add_f16_e32 v104, v28, v109
	v_add_f16_e64 v143, v72, v107
	v_add_f16_e32 v103, v37, v27
	v_fma_f16 v27, v136, 0x3b15, -v110
	v_pk_fma_f16 v72, 0xb3a8bbf1, v35, v65 op_sel:[0,0,1] op_sel_hi:[1,1,0] neg_lo:[0,1,0] neg_hi:[0,1,0]
	v_add_f16_e32 v37, v64, v104
	v_mul_f16_e32 v114, 0xb94e, v50
	v_mul_f16_e64 v130, 0x3a95, v50
	v_add_f16_e32 v104, v27, v108
	v_pk_fma_f16 v68, 0x394ebb7b, v36, v68 op_sel:[0,0,1] op_sel_hi:[1,1,0] neg_lo:[0,1,0] neg_hi:[0,1,0]
	v_add_f16_e32 v27, v72, v37
	v_fma_f16 v37, v136, 0xb9fd, -v114
	v_fma_f16 v107, v136, 0x388b, -v130
	v_mul_f16_e64 v135, 0xbb7b, v50
	v_pk_fma_f16 v65, 0x3bf1b94e, v42, v71 op_sel:[0,0,1] op_sel_hi:[1,1,0] neg_lo:[0,1,0] neg_hi:[0,1,0]
	v_add_f16_e32 v71, v68, v27
	v_add_f16_e32 v106, v37, v106
	;; [unrolled: 1-line block ×3, first 2 shown]
	v_fma_f16 v105, v136, 0xb5ac, -v135
	v_pk_fma_f16 v27, 0x3770b3a8, v50, v101 op_sel:[0,0,1] op_sel_hi:[1,1,0] neg_lo:[0,1,0] neg_hi:[0,1,0]
	v_add_f16_e32 v71, v65, v71
	v_add_co_u32 v37, s2, 0x5b, v93
	s_wait_alu 0xf1ff
	v_add_co_ci_u32_e64 v101, null, 0, 0, s2
	v_add_f16_e64 v108, v105, v143
	v_add_f16_e32 v105, v27, v71
	v_mul_u32_u24_e32 v101, 13, v37
	ds_store_2addr_b32 v102, v178, v166 offset0:1 offset1:2
	ds_store_2addr_b32 v102, v185, v153 offset0:3 offset1:4
	;; [unrolled: 1-line block ×5, first 2 shown]
	ds_store_b32 v102, v142 offset:48
	s_and_saveexec_b32 s2, vcc_lo
	s_cbranch_execz .LBB0_7
; %bb.6:
	v_mul_f16_e64 v141, 0xb5ac, v30
	v_mul_f16_e64 v138, 0x388b, v125
	;; [unrolled: 1-line block ×4, first 2 shown]
	v_mul_f16_e32 v125, 0xb9fd, v125
	v_mul_f16_e64 v148, 0xb9fd, v32
	v_sub_f16_e64 v48, v141, v48
	v_mul_f16_e64 v145, 0xb5ac, v126
	v_mul_f16_e64 v147, 0xbbc4, v126
	;; [unrolled: 1-line block ×3, first 2 shown]
	v_mul_f16_e32 v126, 0x2fb7, v126
	v_mul_f16_e64 v155, 0x3b15, v34
	v_add_f16_e32 v123, v123, v125
	v_add_f16_e32 v48, v48, v4
	v_sub_f16_e64 v51, v148, v51
	v_mul_f16_e64 v152, 0xbbc4, v127
	v_mul_f16_e64 v154, 0xb5ac, v127
	;; [unrolled: 1-line block ×3, first 2 shown]
	v_mul_f16_e32 v127, 0x388b, v127
	v_mul_f16_e64 v162, 0x2fb7, v38
	v_add_f16_e32 v123, v123, v109
	v_add_f16_e32 v124, v124, v126
	;; [unrolled: 1-line block ×3, first 2 shown]
	v_sub_f16_e64 v51, v155, v55
	v_mul_f16_e64 v159, 0xb9fd, v134
	v_mul_f16_e64 v161, 0x3b15, v134
	;; [unrolled: 1-line block ×4, first 2 shown]
	v_mul_f16_e32 v126, 0xbbc4, v41
	v_add_f16_e32 v123, v124, v123
	v_add_f16_e64 v124, v129, v127
	v_add_f16_e32 v48, v51, v48
	v_sub_f16_e64 v51, v162, v59
	v_alignbit_b32 v71, v4, v4, 16
	v_mul_f16_e64 v139, 0x2fb7, v30
	v_add_f16_e32 v123, v124, v123
	v_add_f16_e64 v124, v131, v134
	v_mul_f16_e64 v131, 0x388b, v49
	v_add_f16_e32 v48, v51, v48
	v_sub_f16_e32 v51, v126, v63
	v_mul_f16_e64 v146, 0xbbc4, v32
	v_sub_f16_e64 v44, v139, v44
	v_pk_add_f16 v5, v5, v71 op_sel:[0,1] op_sel_hi:[1,0]
	v_mul_f16_e64 v153, 0xb5ac, v34
	v_add_f16_e32 v48, v51, v48
	v_sub_f16_e64 v51, v131, v66
	v_add_f16_e32 v44, v44, v4
	v_sub_f16_e64 v45, v146, v45
	v_pk_add_f16 v5, v10, v5
	v_mul_f16_e64 v143, 0xb9fd, v30
	v_add_f16_e32 v48, v51, v48
	v_add_f16_e64 v51, v112, v138
	v_mul_f16_e64 v137, 0x3b15, v30
	v_add_f16_e32 v44, v45, v44
	v_sub_f16_e64 v45, v153, v47
	v_pk_add_f16 v5, v11, v5
	v_add_f16_e32 v47, v51, v109
	v_add_f16_e64 v51, v113, v145
	v_mul_f16_e64 v150, 0x2fb7, v32
	v_sub_f16_e64 v53, v143, v53
	v_mul_f16_e64 v144, 0x388b, v32
	v_sub_f16_e64 v12, v137, v12
	v_add_f16_e32 v47, v51, v47
	v_add_f16_e64 v51, v116, v152
	v_pk_add_f16 v5, v8, v5
	v_mul_f16_e64 v157, 0x388b, v34
	v_add_f16_e32 v53, v53, v4
	v_sub_f16_e64 v54, v150, v54
	v_mul_f16_e64 v151, 0x2fb7, v34
	v_mul_f16_e64 v165, 0x2fb7, v133
	v_add_f16_e32 v47, v51, v47
	v_add_f16_e64 v10, v17, v159
	v_add_f16_e32 v4, v12, v4
	v_sub_f16_e64 v12, v144, v14
	v_pk_add_f16 v5, v9, v5
	v_mul_f16_e64 v164, 0xbbc4, v38
	v_add_f16_e64 v120, v120, v142
	v_add_f16_e32 v53, v54, v53
	v_sub_f16_e64 v54, v157, v60
	v_mul_f16_e64 v158, 0xb5ac, v38
	v_mul_f16_e64 v129, 0x3b15, v136
	v_add_f16_e32 v10, v10, v47
	v_add_f16_e64 v11, v19, v165
	v_add_f16_e32 v4, v12, v4
	v_sub_f16_e64 v9, v151, v15
	v_pk_add_f16 v5, v6, v5
	v_mul_f16_e64 v167, 0x388b, v133
	v_mul_f16_e64 v168, 0xbbc4, v133
	;; [unrolled: 1-line block ×4, first 2 shown]
	v_add_f16_e32 v60, v120, v109
	v_add_f16_e64 v120, v121, v149
	v_add_f16_e32 v53, v54, v53
	v_sub_f16_e64 v54, v164, v61
	v_mul_f16_e32 v125, 0xb9fd, v41
	v_add_f16_e32 v10, v11, v10
	v_add_f16_e64 v11, v110, v129
	v_add_f16_e32 v4, v9, v4
	v_sub_f16_e64 v6, v158, v13
	v_bfi_b32 v9, 0xffff, v39, v28
	v_pk_add_f16 v5, v7, v5
	v_add_f16_e32 v123, v124, v123
	v_add_f16_e64 v124, v132, v133
	v_mul_f16_e64 v132, 0xb5ac, v49
	v_add_f16_e32 v60, v120, v60
	v_add_f16_e64 v61, v122, v156
	v_add_f16_e32 v53, v54, v53
	v_sub_f16_e64 v54, v169, v67
	v_mul_f16_e32 v127, 0xbbc4, v49
	v_add_f16_e32 v10, v11, v10
	v_bfi_b32 v11, 0xffff, v40, v64
	v_add_f16_e32 v4, v6, v4
	v_sub_f16_e32 v6, v125, v16
	v_pk_add_f16 v2, v2, v5
	v_pk_add_f16 v5, v9, v71
	v_add_f16_e32 v60, v61, v60
	v_add_f16_e64 v61, v115, v163
	v_add_f16_e32 v53, v54, v53
	v_sub_f16_e64 v54, v132, v69
	v_bfi_b32 v7, 0xffff, v43, v72
	v_add_f16_e32 v4, v6, v4
	v_sub_f16_e32 v6, v127, v18
	v_pk_add_f16 v2, v3, v2
	v_pk_add_f16 v3, v11, v5
	v_pk_mul_f16 v5, 0xb3a8, v31 op_sel_hi:[0,1]
	v_mul_f16_e64 v134, 0x388b, v136
	v_add_f16_e32 v55, v61, v60
	v_add_f16_e64 v60, v128, v168
	v_add_f16_e32 v53, v54, v53
	v_add_f16_e64 v54, v117, v140
	v_bfi_b32 v13, 0xffff, v46, v68
	v_add_f16_e32 v4, v6, v4
	v_pk_add_f16 v0, v0, v2
	v_pk_add_f16 v2, v7, v3
	v_pk_fma_f16 v3, 0xbbc4, v30, v5 op_sel:[0,0,1] op_sel_hi:[0,1,0] neg_lo:[0,0,1] neg_hi:[0,0,1]
	v_pk_fma_f16 v5, 0xbbc4, v30, v5 op_sel:[0,0,1] op_sel_hi:[0,1,0]
	v_pk_mul_f16 v6, 0x3770, v33 op_sel_hi:[0,1]
	v_add_f16_e32 v55, v60, v55
	v_add_f16_e64 v59, v130, v134
	v_add_f16_e32 v54, v54, v109
	v_add_f16_e64 v60, v118, v147
	v_bfi_b32 v9, 0xffff, v57, v65
	v_pk_add_f16 v0, v1, v0
	v_pk_add_f16 v1, v13, v2
	v_bfi_b32 v2, 0xffff, v3, v5
	v_pk_fma_f16 v13, 0x3b15, v32, v6 op_sel:[0,0,1] op_sel_hi:[0,1,0] neg_lo:[0,0,1] neg_hi:[0,0,1]
	v_pk_fma_f16 v6, 0x3b15, v32, v6 op_sel:[0,0,1] op_sel_hi:[0,1,0]
	v_pk_mul_f16 v14, 0xb94e, v35 op_sel_hi:[0,1]
	v_bfi_b32 v3, 0xffff, v5, v3
	v_mul_f16_e64 v160, 0x3b15, v38
	v_add_f16_e32 v55, v59, v55
	v_add_f16_e32 v54, v60, v54
	v_add_f16_e64 v59, v119, v154
	v_bfi_b32 v11, 0xffff, v58, v27
	v_pk_add_f16 v1, v9, v1
	v_pk_add_f16 v2, v2, v71 op_sel:[0,1] op_sel_hi:[1,0]
	v_bfi_b32 v9, 0xffff, v13, v6
	v_pk_fma_f16 v15, 0xb9fd, v34, v14 op_sel:[0,0,1] op_sel_hi:[0,1,0] neg_lo:[0,0,1] neg_hi:[0,0,1]
	v_pk_fma_f16 v14, 0xb9fd, v34, v14 op_sel:[0,0,1] op_sel_hi:[0,1,0]
	v_pk_mul_f16 v5, 0x3a95, v36 op_sel_hi:[0,1]
	v_pk_add_f16 v3, v3, v71 op_sel:[0,1] op_sel_hi:[1,0]
	v_bfi_b32 v6, 0xffff, v6, v13
	v_mul_f16_e64 v166, 0x388b, v41
	v_add_f16_e32 v54, v59, v54
	v_add_f16_e64 v59, v70, v161
	v_add_f16_e32 v44, v45, v44
	v_sub_f16_e64 v45, v160, v52
	v_pk_add_f16 v1, v11, v1
	v_pk_add_f16 v2, v9, v2
	v_bfi_b32 v9, 0xffff, v15, v14
	v_pk_fma_f16 v11, 0x388b, v38, v5 op_sel:[0,0,1] op_sel_hi:[0,1,0] neg_lo:[0,0,1] neg_hi:[0,0,1]
	v_pk_fma_f16 v5, 0x388b, v38, v5 op_sel:[0,0,1] op_sel_hi:[0,1,0]
	v_pk_mul_f16 v13, 0xbb7b, v42 op_sel_hi:[0,1]
	v_pk_add_f16 v3, v6, v3
	v_bfi_b32 v6, 0xffff, v14, v15
	v_mul_f16_e64 v170, 0xb9fd, v49
	v_mul_f16_e64 v171, 0xb9fd, v136
	v_add_f16_e32 v54, v59, v54
	v_add_f16_e64 v59, v111, v167
	v_add_f16_e32 v44, v45, v44
	v_sub_f16_e64 v45, v166, v56
	v_mul_f16_e64 v136, 0xb5ac, v136
	v_pk_add_f16 v2, v9, v2
	v_bfi_b32 v9, 0xffff, v11, v5
	v_pk_fma_f16 v14, 0xb5ac, v41, v13 op_sel:[0,0,1] op_sel_hi:[0,1,0] neg_lo:[0,0,1] neg_hi:[0,0,1]
	v_pk_fma_f16 v13, 0xb5ac, v41, v13 op_sel:[0,0,1] op_sel_hi:[0,1,0]
	v_pk_mul_f16 v15, 0x3bf1, v50 op_sel_hi:[0,1]
	v_pk_add_f16 v3, v6, v3
	v_bfi_b32 v5, 0xffff, v5, v11
	v_add_f16_e32 v52, v59, v54
	v_add_f16_e64 v17, v114, v171
	v_add_f16_e32 v44, v45, v44
	v_sub_f16_e64 v8, v170, v62
	v_add_f16_e32 v123, v124, v123
	v_add_f16_e64 v124, v135, v136
	v_pk_add_f16 v2, v9, v2
	v_bfi_b32 v6, 0xffff, v14, v13
	v_pk_fma_f16 v9, 0x2fb7, v49, v15 op_sel:[0,0,1] op_sel_hi:[0,1,0] neg_lo:[0,0,1] neg_hi:[0,0,1]
	v_pk_fma_f16 v11, 0x2fb7, v49, v15 op_sel:[0,0,1] op_sel_hi:[0,1,0]
	v_pk_add_f16 v3, v5, v3
	v_bfi_b32 v5, 0xffff, v13, v14
	v_add_f16_e32 v12, v17, v52
	v_add_f16_e32 v8, v8, v44
	;; [unrolled: 1-line block ×3, first 2 shown]
	v_alignbit_b32 v10, v10, v1, 16
	v_pack_b32_f16 v1, v4, v1
	v_pk_add_f16 v2, v6, v2
	v_bfi_b32 v4, 0xffff, v9, v11
	v_pk_add_f16 v3, v5, v3
	v_bfi_b32 v5, 0xffff, v11, v9
	v_lshlrev_b32_e32 v7, 2, v101
	v_pk_add_f16 v0, v29, v0
	v_pack_b32_f16 v6, v48, v55
	v_pack_b32_f16 v8, v8, v12
	v_pk_add_f16 v2, v4, v2
	v_pack_b32_f16 v4, v53, v121
	v_pk_add_f16 v3, v5, v3
	v_perm_b32 v5, v108, v25, 0x5040100
	v_perm_b32 v9, v106, v23, 0x5040100
	v_perm_b32 v11, v107, v26, 0x5040100
	v_perm_b32 v12, v105, v103, 0x5040100
	v_perm_b32 v13, v104, v24, 0x5040100
	ds_store_b32 v7, v0
	ds_store_2addr_b32 v7, v1, v10 offset0:1 offset1:2
	ds_store_2addr_b32 v7, v8, v6 offset0:3 offset1:4
	;; [unrolled: 1-line block ×6, first 2 shown]
.LBB0_7:
	s_wait_alu 0xfffe
	s_or_b32 exec_lo, exec_lo, s2
	v_and_b32_e32 v0, 0xff, v93
	v_and_b32_e32 v1, 0xff, v37
	v_add_co_u32 v38, null, 0xb6, v93
	global_wb scope:SCOPE_SE
	s_wait_dscnt 0x0
	v_mul_lo_u16 v0, 0x4f, v0
	s_barrier_signal -1
	v_and_b32_e32 v18, 0xffff, v38
	s_barrier_wait -1
	global_inv scope:SCOPE_SE
	v_lshrrev_b16 v53, 10, v0
	v_mul_lo_u16 v0, 0x4f, v1
	v_mul_u32_u24_e32 v2, 0x4ec5, v18
	v_add_nc_u32_e32 v65, 0x200, v73
	v_add_nc_u32_e32 v60, 0x800, v73
	v_mul_lo_u16 v1, v53, 13
	v_lshrrev_b16 v33, 10, v0
	v_lshrrev_b32_e32 v17, 18, v2
	v_add_nc_u32_e32 v61, 0xa00, v73
	v_add_nc_u32_e32 v64, 0x1000, v73
	v_sub_nc_u16 v0, v93, v1
	v_mul_lo_u16 v1, v33, 13
	v_add_nc_u32_e32 v67, 0x1200, v73
	v_add_nc_u32_e32 v62, 0x1800, v73
	;; [unrolled: 1-line block ×3, first 2 shown]
	v_and_b32_e32 v34, 0xff, v0
	v_sub_nc_u16 v0, v37, v1
	v_add_nc_u32_e32 v66, 0xc00, v73
	v_add_nc_u32_e32 v71, 0x1600, v73
	v_and_b32_e32 v53, 0xffff, v53
	v_mul_u32_u24_e32 v1, 6, v34
	v_and_b32_e32 v16, 0xff, v0
	v_and_b32_e32 v33, 0xffff, v33
	v_mul_u32_u24_e32 v18, 0x6817, v18
	v_mul_u32_u24_e32 v53, 0x5b, v53
	v_lshlrev_b32_e32 v0, 2, v1
	v_mul_u32_u24_e32 v1, 6, v16
	v_lshlrev_b32_e32 v37, 3, v37
	v_lshrrev_b32_e32 v18, 16, v18
	s_clause 0x1
	global_load_b128 v[8:11], v0, s[0:1]
	global_load_b64 v[31:32], v0, s[0:1] offset:16
	v_mul_lo_u16 v0, v17, 13
	v_lshlrev_b32_e32 v1, 2, v1
	s_clause 0x1
	global_load_b128 v[4:7], v1, s[0:1]
	global_load_b64 v[29:30], v1, s[0:1] offset:16
	v_sub_nc_u16 v19, v38, v0
	s_delay_alu instid0(VALU_DEP_1) | instskip(SKIP_1) | instid1(VALU_DEP_2)
	v_mul_lo_u16 v0, v19, 6
	v_mad_u16 v17, 0x5b, v17, v19
	v_and_b32_e32 v0, 0xffff, v0
	s_delay_alu instid0(VALU_DEP_1)
	v_lshlrev_b32_e32 v12, 2, v0
	s_clause 0x1
	global_load_b128 v[0:3], v12, s[0:1]
	global_load_b64 v[27:28], v12, s[0:1] offset:16
	ds_load_2addr_b32 v[14:15], v73 offset1:91
	ds_load_b32 v54, v73 offset:7280
	ds_load_2addr_b32 v[12:13], v65 offset0:54 offset1:145
	ds_load_2addr_b32 v[35:36], v60 offset0:34 offset1:125
	;; [unrolled: 1-line block ×9, first 2 shown]
	global_wb scope:SCOPE_SE
	s_wait_loadcnt_dscnt 0x0
	s_barrier_signal -1
	s_barrier_wait -1
	global_inv scope:SCOPE_SE
	v_lshrrev_b32_e32 v58, 16, v13
	v_lshrrev_b32_e32 v59, 16, v35
	;; [unrolled: 1-line block ×27, first 2 shown]
	v_mul_f16_e64 v139, v58, v127
	v_lshrrev_b32_e32 v121, 16, v4
	v_lshrrev_b32_e32 v120, 16, v5
	;; [unrolled: 1-line block ×6, first 2 shown]
	v_mul_f16_e64 v140, v13, v127
	v_mul_f16_e64 v141, v59, v126
	;; [unrolled: 1-line block ×23, first 2 shown]
	v_lshrrev_b32_e32 v119, 16, v0
	v_lshrrev_b32_e32 v117, 16, v1
	;; [unrolled: 1-line block ×6, first 2 shown]
	v_fma_f16 v13, v13, v8, -v139
	v_fmac_f16_e64 v140, v58, v8
	v_fma_f16 v35, v35, v9, -v141
	v_fmac_f16_e64 v142, v59, v9
	;; [unrolled: 2-line block ×12, first 2 shown]
	v_mul_f16_e64 v58, v134, v119
	v_mul_f16_e32 v59, v48, v119
	v_mul_f16_e64 v68, v135, v117
	v_mul_f16_e32 v69, v39, v117
	v_mul_f16_e64 v70, v136, v115
	v_mul_f16_e32 v72, v50, v115
	v_mul_f16_e64 v109, v137, v113
	v_mul_f16_e64 v128, v43, v113
	;; [unrolled: 1-line block ×6, first 2 shown]
	v_fma_f16 v48, v48, v0, -v58
	v_fmac_f16_e64 v59, v134, v0
	v_fma_f16 v39, v39, v1, -v68
	v_fmac_f16_e64 v69, v135, v1
	;; [unrolled: 2-line block ×6, first 2 shown]
	v_add_f16_e32 v57, v13, v45
	v_add_f16_e64 v58, v140, v150
	v_sub_f16_e32 v13, v13, v45
	v_sub_f16_e64 v45, v140, v150
	v_add_f16_e32 v68, v35, v44
	v_add_f16_e64 v70, v142, v148
	v_sub_f16_e32 v35, v35, v44
	v_sub_f16_e64 v44, v142, v148
	;; [unrolled: 4-line block ×3, first 2 shown]
	v_add_f16_e64 v131, v47, v46
	v_add_f16_e64 v134, v152, v162
	v_sub_f16_e32 v46, v47, v46
	v_add_f16_e64 v135, v36, v51
	v_add_f16_e64 v136, v154, v160
	v_sub_f16_e32 v36, v36, v51
	v_sub_f16_e64 v51, v154, v160
	v_add_f16_e64 v137, v49, v42
	v_sub_f16_e32 v42, v42, v49
	v_sub_f16_e64 v49, v158, v156
	v_sub_f16_e64 v47, v152, v162
	v_add_f16_e64 v138, v156, v158
	v_add_f16_e64 v139, v68, v57
	v_add_f16_e64 v140, v70, v58
	v_sub_f16_e64 v141, v68, v57
	v_sub_f16_e64 v142, v70, v58
	v_sub_f16_e32 v57, v57, v109
	v_sub_f16_e64 v58, v58, v129
	v_sub_f16_e32 v68, v109, v68
	v_sub_f16_e64 v70, v129, v70
	v_add_f16_e64 v143, v40, v35
	v_add_f16_e64 v144, v41, v44
	v_sub_f16_e64 v145, v40, v35
	v_sub_f16_e64 v146, v41, v44
	v_sub_f16_e32 v35, v35, v13
	v_sub_f16_e32 v44, v44, v45
	v_add_f16_e64 v147, v135, v131
	v_add_f16_e64 v148, v136, v134
	;; [unrolled: 1-line block ×3, first 2 shown]
	v_sub_f16_e64 v153, v42, v36
	v_sub_f16_e64 v154, v49, v51
	v_sub_f16_e32 v36, v36, v46
	v_add_f16_e64 v155, v48, v54
	v_add_f16_e64 v156, v59, v132
	v_sub_f16_e32 v48, v48, v54
	v_sub_f16_e64 v54, v59, v132
	v_add_f16_e64 v132, v69, v130
	v_sub_f16_e32 v40, v13, v40
	v_sub_f16_e32 v41, v45, v41
	v_sub_f16_e64 v149, v135, v131
	v_sub_f16_e64 v150, v136, v134
	;; [unrolled: 1-line block ×6, first 2 shown]
	v_add_f16_e64 v152, v49, v51
	v_sub_f16_e32 v42, v46, v42
	v_sub_f16_e32 v51, v51, v47
	v_add_f16_e32 v59, v39, v52
	v_sub_f16_e32 v39, v39, v52
	v_sub_f16_e64 v52, v69, v130
	v_add_f16_e32 v69, v50, v43
	v_add_f16_e64 v130, v72, v128
	v_sub_f16_e32 v43, v43, v50
	v_sub_f16_e64 v50, v128, v72
	v_add_f16_e64 v72, v109, v139
	v_add_f16_e64 v109, v129, v140
	v_add_f16_e64 v13, v143, v13
	v_add_f16_e64 v45, v144, v45
	v_mul_f16_e32 v57, 0x3a52, v57
	v_mul_f16_e32 v58, 0x3a52, v58
	v_mul_f16_e64 v128, 0x2b26, v68
	v_mul_f16_e64 v129, 0x2b26, v70
	;; [unrolled: 1-line block ×6, first 2 shown]
	v_add_f16_e64 v137, v137, v147
	v_add_f16_e64 v138, v138, v148
	;; [unrolled: 1-line block ×3, first 2 shown]
	v_mul_f16_e64 v147, 0xb846, v153
	v_mul_f16_e64 v148, 0xb846, v154
	;; [unrolled: 1-line block ×3, first 2 shown]
	v_add_f16_e64 v154, v132, v156
	v_sub_f16_e32 v49, v47, v49
	v_add_f16_e64 v47, v152, v47
	v_mul_f16_e64 v131, 0x3a52, v131
	v_mul_f16_e64 v134, 0x3a52, v134
	;; [unrolled: 1-line block ×5, first 2 shown]
	v_add_f16_e64 v153, v59, v155
	v_sub_f16_e64 v157, v59, v155
	v_sub_f16_e64 v158, v132, v156
	;; [unrolled: 1-line block ×5, first 2 shown]
	v_add_f16_e64 v159, v43, v39
	v_add_f16_e64 v160, v50, v52
	v_sub_f16_e64 v161, v43, v39
	v_sub_f16_e64 v162, v50, v52
	v_sub_f16_e32 v39, v39, v48
	v_sub_f16_e32 v52, v52, v54
	v_add_f16_e32 v14, v14, v72
	v_add_f16_e32 v55, v55, v109
	v_fmamk_f16 v68, v68, 0x2b26, v57
	v_fmamk_f16 v70, v70, 0x2b26, v58
	v_fma_f16 v128, v141, 0x39e0, -v128
	v_fma_f16 v129, v142, 0x39e0, -v129
	v_fma_f16 v57, v141, 0xb9e0, -v57
	v_fma_f16 v58, v142, 0xb9e0, -v58
	v_fma_f16 v141, 0x3574, v40, v139
	v_fma_f16 v142, 0x3574, v41, v140
	v_fma_f16 v35, v35, 0x3b00, -v139
	v_fma_f16 v44, v44, 0x3b00, -v140
	;; [unrolled: 1-line block ×4, first 2 shown]
	v_add_f16_e64 v15, v15, v137
	v_add_f16_e64 v56, v56, v138
	v_fma_f16 v143, 0x3574, v42, v147
	v_fma_f16 v36, v36, 0x3b00, -v147
	v_fma_f16 v42, v42, 0xb574, -v151
	v_add_f16_e64 v130, v130, v154
	v_sub_f16_e32 v59, v69, v59
	v_sub_f16_e32 v43, v48, v43
	;; [unrolled: 1-line block ×3, first 2 shown]
	v_fma_f16 v135, 0x2b26, v135, v131
	v_fma_f16 v136, 0x2b26, v136, v134
	v_fma_f16 v139, v149, 0x39e0, -v145
	v_fma_f16 v140, v150, 0x39e0, -v146
	;; [unrolled: 1-line block ×4, first 2 shown]
	v_fma_f16 v144, 0x3574, v49, v148
	v_fma_f16 v51, v51, 0x3b00, -v148
	v_fma_f16 v49, v49, 0xb574, -v152
	v_mul_f16_e64 v145, 0x3a52, v155
	v_mul_f16_e64 v146, 0x3a52, v156
	;; [unrolled: 1-line block ×6, first 2 shown]
	v_fmamk_f16 v72, v72, 0xbcab, v14
	v_fmamk_f16 v109, v109, 0xbcab, v55
	v_fmac_f16_e64 v141, 0x370e, v13
	v_fmac_f16_e64 v142, 0x370e, v45
	v_fmac_f16_e32 v35, 0x370e, v13
	v_fmac_f16_e32 v44, 0x370e, v45
	;; [unrolled: 1-line block ×4, first 2 shown]
	v_fma_f16 v13, 0xbcab, v137, v15
	v_fma_f16 v45, 0xbcab, v138, v56
	v_fmac_f16_e64 v143, 0x370e, v46
	v_fmac_f16_e32 v36, 0x370e, v46
	v_fmac_f16_e32 v42, 0x370e, v46
	v_add_f16_e64 v46, v133, v130
	v_add_f16_e64 v48, v159, v48
	;; [unrolled: 1-line block ×3, first 2 shown]
	v_mul_f16_e64 v147, 0x2b26, v59
	v_fmac_f16_e64 v144, 0x370e, v47
	v_fmac_f16_e32 v51, 0x370e, v47
	v_fmac_f16_e32 v49, 0x370e, v47
	v_fma_f16 v47, 0x2b26, v59, v145
	v_fma_f16 v59, 0x2b26, v132, v146
	v_fma_f16 v137, v157, 0xb9e0, -v145
	v_fma_f16 v138, v158, 0xb9e0, -v146
	v_fma_f16 v145, 0x3574, v43, v149
	v_fma_f16 v146, 0x3574, v50, v150
	v_fma_f16 v39, v39, 0x3b00, -v149
	v_fma_f16 v52, v52, 0x3b00, -v150
	;; [unrolled: 1-line block ×4, first 2 shown]
	v_add_f16_e32 v68, v68, v72
	v_add_f16_e32 v70, v70, v109
	v_add_f16_e64 v128, v128, v72
	v_add_f16_e64 v129, v129, v109
	v_add_f16_e32 v57, v57, v72
	v_add_f16_e32 v58, v58, v109
	v_add_f16_e64 v72, v135, v13
	v_add_f16_e64 v109, v136, v45
	;; [unrolled: 1-line block ×4, first 2 shown]
	v_fma_f16 v130, 0xbcab, v130, v46
	v_add_f16_e64 v136, v140, v45
	v_add_f16_e64 v45, v134, v45
	v_fmac_f16_e64 v145, 0x370e, v48
	v_fmac_f16_e64 v146, 0x370e, v54
	v_fmac_f16_e32 v39, 0x370e, v48
	v_fmac_f16_e32 v52, 0x370e, v54
	;; [unrolled: 1-line block ×4, first 2 shown]
	v_add_f16_e64 v48, v142, v68
	v_sub_f16_e64 v54, v70, v141
	v_sub_f16_e64 v134, v58, v40
	;; [unrolled: 1-line block ×3, first 2 shown]
	v_add_f16_e64 v44, v44, v128
	v_add_f16_e32 v40, v40, v58
	v_add_f16_e64 v58, v141, v70
	v_sub_f16_e64 v70, v109, v143
	v_add_f16_e64 v128, v49, v13
	v_sub_f16_e32 v13, v13, v49
	v_add_f16_e64 v49, v143, v109
	v_add_f16_e64 v109, v138, v130
	;; [unrolled: 1-line block ×3, first 2 shown]
	v_sub_f16_e32 v41, v57, v41
	v_sub_f16_e64 v57, v68, v142
	v_add_f16_e64 v142, v36, v136
	v_sub_f16_e64 v36, v136, v36
	v_sub_f16_e64 v136, v109, v43
	v_add_f16_e32 v43, v43, v109
	v_add_lshl_u32 v109, v53, v34, 2
	v_pack_b32_f16 v14, v14, v55
	v_pack_b32_f16 v34, v48, v54
	v_add_f16_e64 v140, v35, v129
	v_sub_f16_e64 v35, v129, v35
	v_add_f16_e64 v68, v144, v72
	v_add_f16_e64 v69, v69, v153
	ds_store_2addr_b32 v109, v14, v34 offset1:13
	v_mul_u32_u24_e32 v14, 0x5b, v33
	v_pack_b32_f16 v53, v139, v140
	v_sub_f16_e64 v129, v45, v42
	v_sub_f16_e64 v141, v135, v51
	v_pack_b32_f16 v48, v131, v134
	v_add_lshl_u32 v139, v14, v16, 2
	v_sub_nc_u16 v16, v38, v18
	v_pack_b32_f16 v35, v44, v35
	v_pack_b32_f16 v40, v41, v40
	;; [unrolled: 1-line block ×5, first 2 shown]
	v_lshrrev_b16 v16, 1, v16
	v_add_f16_e32 v12, v12, v69
	ds_store_2addr_b32 v109, v48, v53 offset0:26 offset1:39
	ds_store_2addr_b32 v109, v35, v40 offset0:52 offset1:65
	v_pack_b32_f16 v34, v128, v129
	v_pack_b32_f16 v35, v141, v142
	v_mul_f16_e64 v148, 0x2b26, v132
	v_add_f16_e64 v51, v51, v135
	v_add_f16_e32 v42, v42, v45
	ds_store_b32 v109, v33 offset:312
	ds_store_2addr_b32 v139, v14, v15 offset1:13
	ds_store_2addr_b32 v139, v34, v35 offset0:26 offset1:39
	v_and_b32_e32 v14, 0xffff, v17
	v_add_nc_u16 v16, v16, v18
	v_fmamk_f16 v69, v69, 0xbcab, v12
	v_fma_f16 v132, v157, 0x39e0, -v147
	v_fma_f16 v133, v158, 0x39e0, -v148
	v_pack_b32_f16 v15, v51, v36
	v_pack_b32_f16 v13, v13, v42
	v_lshlrev_b32_e32 v141, 2, v14
	v_lshrrev_b16 v14, 6, v16
	v_add_f16_e32 v47, v47, v69
	v_add_f16_e64 v59, v59, v130
	v_sub_f16_e64 v45, v72, v144
	v_add_f16_e64 v72, v132, v69
	v_add_f16_e64 v69, v137, v69
	;; [unrolled: 1-line block ×3, first 2 shown]
	ds_store_2addr_b32 v139, v15, v13 offset0:52 offset1:65
	v_mul_lo_u16 v13, 0x5b, v14
	v_add_f16_e64 v132, v146, v47
	v_sub_f16_e64 v133, v59, v145
	v_add_f16_e64 v135, v50, v69
	v_sub_f16_e64 v137, v72, v52
	v_add_f16_e64 v138, v39, v130
	v_add_f16_e32 v52, v52, v72
	v_sub_f16_e64 v39, v130, v39
	v_sub_f16_e32 v50, v69, v50
	v_pack_b32_f16 v17, v45, v49
	v_sub_nc_u16 v40, v38, v13
	v_sub_f16_e64 v47, v47, v146
	v_add_f16_e64 v59, v145, v59
	v_pack_b32_f16 v12, v12, v46
	v_pack_b32_f16 v16, v132, v133
	;; [unrolled: 1-line block ×4, first 2 shown]
	ds_store_b32 v139, v17 offset:312
	ds_store_2addr_b32 v141, v12, v16 offset1:13
	ds_store_2addr_b32 v141, v18, v19 offset0:26 offset1:39
	v_pack_b32_f16 v14, v52, v39
	v_pack_b32_f16 v15, v50, v43
	v_mul_lo_u16 v17, v40, 24
	v_pack_b32_f16 v16, v47, v59
	ds_store_2addr_b32 v141, v14, v15 offset0:52 offset1:65
	ds_store_b32 v141, v16 offset:312
	v_and_b32_e32 v14, 0xffff, v17
	v_mad_co_u64_u32 v[12:13], null, v93, 24, s[0:1]
	global_wb scope:SCOPE_SE
	s_wait_dscnt 0x0
	s_barrier_signal -1
	v_add_co_u32 v33, s2, s0, v14
	s_wait_alu 0xf1ff
	v_add_co_ci_u32_e64 v34, null, s1, 0, s2
	s_barrier_wait -1
	global_inv scope:SCOPE_SE
	s_clause 0x3
	global_load_b128 v[16:19], v[12:13], off offset:312
	global_load_b64 v[35:36], v[12:13], off offset:328
	global_load_b128 v[12:15], v[33:34], off offset:312
	global_load_b64 v[33:34], v[33:34], off offset:328
	ds_load_2addr_b32 v[41:42], v73 offset1:91
	ds_load_2addr_b32 v[43:44], v65 offset0:54 offset1:145
	ds_load_2addr_b32 v[45:46], v60 offset0:34 offset1:125
	;; [unrolled: 1-line block ×9, first 2 shown]
	ds_load_b32 v59, v73 offset:7280
	v_and_b32_e32 v40, 0xffff, v40
	global_wb scope:SCOPE_SE
	s_wait_loadcnt_dscnt 0x0
	s_barrier_signal -1
	s_barrier_wait -1
	global_inv scope:SCOPE_SE
	v_lshlrev_b32_e32 v39, 3, v93
	v_lshlrev_b32_e32 v38, 3, v38
	v_lshrrev_b32_e32 v70, 16, v41
	v_lshrrev_b32_e32 v72, 16, v44
	;; [unrolled: 1-line block ×27, first 2 shown]
	v_mul_f16_e64 v161, v72, v140
	v_mul_f16_e64 v162, v44, v140
	v_mul_f16_e64 v163, v142, v138
	v_mul_f16_e64 v164, v45, v138
	v_mul_f16_e64 v165, v143, v137
	v_mul_f16_e64 v166, v48, v137
	v_mul_f16_e64 v167, v144, v136
	v_mul_f16_e64 v168, v49, v136
	v_mul_f16_e64 v169, v145, v135
	v_mul_f16_e64 v170, v52, v135
	v_mul_f16_e64 v171, v146, v134
	v_mul_f16_e64 v172, v53, v134
	v_mul_f16_e64 v173, v148, v140
	v_mul_f16_e64 v174, v55, v140
	v_mul_f16_e64 v175, v149, v138
	v_mul_f16_e64 v176, v46, v138
	v_mul_f16_e64 v181, v152, v135
	v_mul_f16_e64 v182, v68, v135
	v_mul_f16_e64 v183, v153, v134
	v_mul_f16_e64 v184, v54, v134
	v_mul_f16_e64 v177, v150, v137
	v_mul_f16_e64 v178, v57, v137
	v_mul_f16_e64 v179, v151, v136
	v_mul_f16_e64 v180, v50, v136
	v_fma_f16 v44, v44, v16, -v161
	v_fmac_f16_e64 v162, v72, v16
	v_fma_f16 v45, v45, v17, -v163
	v_fmac_f16_e64 v164, v142, v17
	;; [unrolled: 2-line block ×10, first 2 shown]
	v_lshrrev_b32_e32 v133, 16, v12
	v_lshrrev_b32_e32 v132, 16, v13
	;; [unrolled: 1-line block ×4, first 2 shown]
	v_fma_f16 v57, v57, v18, -v177
	v_fmac_f16_e64 v178, v150, v18
	v_fma_f16 v50, v50, v19, -v179
	v_fmac_f16_e64 v180, v151, v19
	v_add_f16_e32 v72, v44, v53
	v_add_f16_e64 v142, v162, v172
	v_sub_f16_e32 v44, v44, v53
	v_sub_f16_e64 v53, v162, v172
	v_add_f16_e64 v143, v45, v52
	v_add_f16_e64 v144, v164, v170
	v_sub_f16_e32 v45, v45, v52
	v_sub_f16_e64 v52, v164, v170
	v_add_f16_e64 v145, v48, v49
	;; [unrolled: 4-line block ×3, first 2 shown]
	v_add_f16_e64 v149, v174, v184
	v_add_f16_e64 v150, v46, v68
	;; [unrolled: 1-line block ×3, first 2 shown]
	v_lshrrev_b32_e32 v131, 16, v14
	v_lshrrev_b32_e32 v130, 16, v15
	v_mul_f16_e64 v185, v155, v133
	v_mul_f16_e64 v186, v56, v133
	;; [unrolled: 1-line block ×8, first 2 shown]
	v_sub_f16_e32 v54, v55, v54
	v_sub_f16_e64 v55, v174, v184
	v_sub_f16_e32 v46, v46, v68
	v_sub_f16_e64 v68, v176, v182
	v_add_f16_e64 v152, v57, v50
	v_add_f16_e64 v153, v178, v180
	v_sub_f16_e32 v50, v50, v57
	v_sub_f16_e64 v57, v180, v178
	v_add_f16_e64 v161, v143, v72
	v_add_f16_e64 v162, v144, v142
	v_sub_f16_e64 v163, v143, v72
	v_sub_f16_e64 v164, v144, v142
	;; [unrolled: 1-line block ×6, first 2 shown]
	v_add_f16_e64 v165, v48, v45
	v_add_f16_e64 v166, v49, v52
	v_sub_f16_e64 v167, v48, v45
	v_sub_f16_e64 v168, v49, v52
	v_sub_f16_e32 v45, v45, v44
	v_sub_f16_e32 v52, v52, v53
	v_add_f16_e64 v169, v150, v148
	v_add_f16_e64 v170, v151, v149
	v_mul_f16_e64 v189, v157, v131
	v_mul_f16_e64 v190, v58, v131
	;; [unrolled: 1-line block ×4, first 2 shown]
	v_fma_f16 v56, v56, v12, -v185
	v_fmac_f16_e64 v186, v155, v12
	v_fma_f16 v47, v47, v13, -v187
	v_fmac_f16_e64 v188, v156, v13
	;; [unrolled: 2-line block ×4, first 2 shown]
	v_sub_f16_e32 v48, v44, v48
	v_sub_f16_e32 v49, v53, v49
	v_sub_f16_e64 v171, v150, v148
	v_sub_f16_e64 v172, v151, v149
	v_sub_f16_e64 v148, v148, v152
	v_sub_f16_e64 v149, v149, v153
	v_sub_f16_e64 v150, v152, v150
	v_sub_f16_e64 v151, v153, v151
	v_add_f16_e64 v173, v50, v46
	v_add_f16_e64 v174, v57, v68
	v_sub_f16_e64 v175, v50, v46
	v_sub_f16_e64 v176, v57, v68
	v_sub_f16_e32 v46, v46, v54
	v_sub_f16_e32 v68, v68, v55
	v_add_f16_e64 v145, v145, v161
	v_add_f16_e64 v146, v146, v162
	;; [unrolled: 1-line block ×4, first 2 shown]
	v_mul_f16_e32 v72, 0x3a52, v72
	v_mul_f16_e64 v142, 0x3a52, v142
	v_mul_f16_e64 v161, 0x2b26, v143
	;; [unrolled: 1-line block ×7, first 2 shown]
	v_add_f16_e64 v152, v152, v169
	v_add_f16_e64 v153, v153, v170
	v_fma_f16 v58, v58, v14, -v189
	v_fmac_f16_e64 v190, v157, v14
	v_fma_f16 v51, v51, v15, -v191
	v_fmac_f16_e64 v192, v158, v15
	v_add_f16_e64 v155, v56, v59
	v_add_f16_e64 v156, v186, v196
	;; [unrolled: 1-line block ×4, first 2 shown]
	v_sub_f16_e32 v50, v54, v50
	v_sub_f16_e32 v57, v55, v57
	v_add_f16_e64 v54, v173, v54
	v_add_f16_e64 v55, v174, v55
	v_mul_f16_e64 v148, 0x3a52, v148
	v_mul_f16_e64 v149, 0x3a52, v149
	;; [unrolled: 1-line block ×8, first 2 shown]
	v_add_f16_e64 v41, v41, v145
	v_add_f16_e64 v70, v70, v146
	v_fma_f16 v143, 0x2b26, v143, v72
	v_fma_f16 v144, 0x2b26, v144, v142
	v_fma_f16 v161, v163, 0x39e0, -v161
	v_fma_f16 v162, v164, 0x39e0, -v162
	;; [unrolled: 1-line block ×4, first 2 shown]
	v_fma_f16 v163, 0x3574, v48, v165
	v_fma_f16 v164, 0x3574, v49, v166
	v_fma_f16 v45, v45, 0x3b00, -v165
	v_fma_f16 v52, v52, 0x3b00, -v166
	;; [unrolled: 1-line block ×4, first 2 shown]
	v_add_f16_e64 v42, v42, v152
	v_add_f16_e64 v147, v147, v153
	v_sub_f16_e32 v47, v47, v69
	v_sub_f16_e64 v69, v188, v194
	v_add_f16_e64 v159, v58, v51
	v_add_f16_e64 v160, v190, v192
	v_sub_f16_e32 v51, v51, v58
	v_sub_f16_e64 v58, v192, v190
	v_add_f16_e64 v177, v157, v155
	v_add_f16_e64 v178, v158, v156
	v_fma_f16 v150, 0x2b26, v150, v148
	v_fma_f16 v151, 0x2b26, v151, v149
	v_fma_f16 v165, v171, 0x39e0, -v169
	v_fma_f16 v166, v172, 0x39e0, -v170
	;; [unrolled: 1-line block ×4, first 2 shown]
	v_fma_f16 v167, 0x3574, v50, v173
	v_fma_f16 v168, 0x3574, v57, v174
	v_fma_f16 v46, v46, 0x3b00, -v173
	v_fma_f16 v68, v68, 0x3b00, -v174
	;; [unrolled: 1-line block ×4, first 2 shown]
	v_fma_f16 v145, 0xbcab, v145, v41
	v_fma_f16 v146, 0xbcab, v146, v70
	v_fmac_f16_e64 v163, 0x370e, v44
	v_fmac_f16_e64 v164, 0x370e, v53
	v_fmac_f16_e32 v45, 0x370e, v44
	v_fmac_f16_e32 v52, 0x370e, v53
	;; [unrolled: 1-line block ×4, first 2 shown]
	v_fma_f16 v44, 0xbcab, v152, v42
	v_fma_f16 v53, 0xbcab, v153, v147
	v_sub_f16_e32 v56, v56, v59
	v_sub_f16_e64 v59, v186, v196
	v_sub_f16_e64 v179, v157, v155
	;; [unrolled: 1-line block ×9, first 2 shown]
	v_add_f16_e64 v159, v159, v177
	v_add_f16_e64 v160, v160, v178
	v_fmac_f16_e64 v167, 0x370e, v54
	v_fmac_f16_e64 v168, 0x370e, v55
	v_fmac_f16_e32 v46, 0x370e, v54
	v_fmac_f16_e32 v68, 0x370e, v55
	;; [unrolled: 1-line block ×4, first 2 shown]
	v_add_f16_e64 v54, v143, v145
	v_add_f16_e64 v55, v144, v146
	;; [unrolled: 1-line block ×14, first 2 shown]
	v_sub_f16_e32 v47, v47, v56
	v_sub_f16_e32 v69, v69, v59
	;; [unrolled: 1-line block ×4, first 2 shown]
	v_sub_f16_e64 v149, v55, v163
	v_add_f16_e64 v152, v49, v72
	v_sub_f16_e64 v153, v142, v48
	v_sub_f16_e64 v161, v143, v52
	v_add_f16_e64 v162, v45, v144
	v_add_f16_e64 v52, v52, v143
	v_sub_f16_e64 v45, v144, v45
	v_sub_f16_e32 v49, v72, v49
	v_add_f16_e64 v48, v48, v142
	v_add_f16_e64 v55, v163, v55
	;; [unrolled: 1-line block ×3, first 2 shown]
	v_sub_f16_e64 v142, v146, v167
	v_add_f16_e64 v143, v57, v44
	v_sub_f16_e64 v144, v53, v50
	v_sub_f16_e64 v163, v150, v68
	v_add_f16_e64 v68, v68, v150
	v_sub_f16_e32 v44, v44, v57
	v_add_f16_e32 v50, v50, v53
	v_sub_f16_e64 v53, v145, v168
	v_add_f16_e64 v57, v167, v146
	v_add_f16_e64 v43, v43, v159
	;; [unrolled: 1-line block ×3, first 2 shown]
	v_mul_f16_e64 v146, 0x3a52, v155
	v_mul_f16_e64 v150, 0x3a52, v156
	;; [unrolled: 1-line block ×4, first 2 shown]
	v_add_f16_e64 v148, v164, v54
	v_sub_f16_e64 v54, v54, v164
	v_add_f16_e64 v164, v46, v151
	v_sub_f16_e64 v46, v151, v46
	v_mul_f16_e64 v151, 0x2b26, v157
	v_mul_f16_e64 v154, 0x2b26, v158
	v_mul_f16_e64 v165, 0x3b00, v47
	v_mul_f16_e64 v166, 0x3b00, v69
	v_add_f16_e64 v56, v181, v56
	v_add_f16_e64 v59, v182, v59
	v_fma_f16 v159, 0xbcab, v159, v43
	v_fma_f16 v160, 0xbcab, v160, v145
	;; [unrolled: 1-line block ×6, first 2 shown]
	v_fma_f16 v151, v179, 0x39e0, -v151
	v_fma_f16 v154, v180, 0x39e0, -v154
	v_fma_f16 v146, v179, 0xb9e0, -v146
	v_fma_f16 v150, v180, 0xb9e0, -v150
	v_fma_f16 v47, v47, 0x3b00, -v155
	v_fma_f16 v69, v69, 0x3b00, -v156
	v_fma_f16 v51, v51, 0xb574, -v165
	v_fma_f16 v58, v58, 0xb574, -v166
	v_pack_b32_f16 v41, v41, v70
	v_pack_b32_f16 v70, v148, v149
	v_add_f16_e64 v155, v157, v159
	v_add_f16_e64 v156, v158, v160
	v_fmac_f16_e64 v167, 0x370e, v56
	v_fmac_f16_e64 v168, 0x370e, v59
	v_pack_b32_f16 v148, v152, v153
	v_pack_b32_f16 v149, v161, v162
	v_add_f16_e64 v151, v151, v159
	v_add_f16_e64 v154, v154, v160
	;; [unrolled: 1-line block ×4, first 2 shown]
	v_fmac_f16_e32 v47, 0x370e, v56
	v_fmac_f16_e32 v58, 0x370e, v59
	;; [unrolled: 1-line block ×4, first 2 shown]
	ds_store_2addr_b32 v73, v41, v70 offset1:91
	ds_store_2addr_b32 v65, v148, v149 offset0:54 offset1:145
	v_pack_b32_f16 v41, v52, v45
	v_pack_b32_f16 v45, v49, v48
	v_add_f16_e64 v56, v168, v155
	v_sub_f16_e64 v59, v156, v167
	v_pack_b32_f16 v48, v54, v55
	v_pack_b32_f16 v42, v42, v147
	;; [unrolled: 1-line block ×3, first 2 shown]
	v_lshlrev_b32_e32 v142, 2, v40
	v_add_f16_e64 v157, v58, v146
	v_sub_f16_e64 v158, v150, v51
	v_sub_f16_e64 v159, v151, v69
	v_add_f16_e64 v160, v47, v154
	v_pack_b32_f16 v52, v143, v144
	v_add_f16_e64 v69, v69, v151
	v_sub_f16_e64 v47, v154, v47
	v_sub_f16_e64 v58, v146, v58
	v_add_f16_e64 v51, v51, v150
	v_pack_b32_f16 v54, v163, v164
	v_pack_b32_f16 v46, v68, v46
	v_sub_f16_e64 v146, v155, v168
	v_add_f16_e64 v150, v167, v156
	ds_store_2addr_b32 v63, v41, v45 offset0:108 offset1:199
	ds_store_2addr_b32 v60, v48, v42 offset0:34 offset1:125
	ds_store_2addr_b32 v61, v49, v52 offset0:88 offset1:179
	ds_store_2addr_b32 v66, v54, v46 offset0:142 offset1:233
	v_pack_b32_f16 v40, v44, v50
	v_pack_b32_f16 v41, v53, v57
	;; [unrolled: 1-line block ×4, first 2 shown]
	v_add_nc_u32_e32 v44, 0x1200, v142
	v_pack_b32_f16 v45, v157, v158
	v_pack_b32_f16 v46, v159, v160
	v_add_nc_u32_e32 v48, 0x1600, v142
	v_pack_b32_f16 v47, v69, v47
	v_pack_b32_f16 v49, v58, v51
	v_add_nc_u32_e32 v50, 0x1800, v142
	v_pack_b32_f16 v51, v146, v150
	ds_store_2addr_b32 v64, v40, v41 offset0:68 offset1:159
	ds_store_2addr_b32 v44, v42, v43 offset0:122 offset1:213
	;; [unrolled: 1-line block ×4, first 2 shown]
	ds_store_b32 v142, v51 offset:7280
	v_add_nc_u32_e32 v40, 0x888, v39
	global_wb scope:SCOPE_SE
	s_wait_dscnt 0x0
	s_barrier_signal -1
	s_barrier_wait -1
	global_inv scope:SCOPE_SE
	s_clause 0x3
	global_load_b64 v[41:42], v39, s[0:1] offset:2496
	global_load_b64 v[47:48], v40, s[0:1] offset:2496
	;; [unrolled: 1-line block ×4, first 2 shown]
	v_add_nc_u32_e32 v37, 0xb60, v39
	v_add_nc_u32_e32 v38, 0xe38, v39
	;; [unrolled: 1-line block ×3, first 2 shown]
	s_clause 0x2
	global_load_b64 v[49:50], v37, s[0:1] offset:2496
	global_load_b64 v[39:40], v38, s[0:1] offset:2496
	;; [unrolled: 1-line block ×3, first 2 shown]
	ds_load_2addr_b32 v[68:69], v73 offset1:91
	ds_load_2addr_b32 v[53:54], v60 offset0:34 offset1:125
	ds_load_2addr_b32 v[51:52], v67 offset0:122 offset1:213
	;; [unrolled: 1-line block ×9, first 2 shown]
	ds_load_b32 v59, v73 offset:7280
	s_add_nc_u64 s[0:1], s[12:13], 0x1ddc
	v_add_nc_u32_e32 v70, 0x1400, v73
	v_add_nc_u32_e32 v72, 0x1a00, v73
	s_wait_dscnt 0xa
	v_lshrrev_b32_e32 v172, 16, v68
	s_wait_dscnt 0x9
	v_lshrrev_b32_e32 v157, 16, v54
	;; [unrolled: 2-line block ×4, first 2 shown]
	v_lshrrev_b32_e32 v175, 16, v52
	v_lshrrev_b32_e32 v177, 16, v58
	s_wait_dscnt 0x5
	v_lshrrev_b32_e32 v178, 16, v161
	s_wait_dscnt 0x4
	v_lshrrev_b32_e32 v180, 16, v166
	v_lshrrev_b32_e32 v181, 16, v162
	;; [unrolled: 1-line block ×3, first 2 shown]
	s_wait_dscnt 0x2
	v_lshrrev_b32_e32 v183, 16, v168
	s_wait_dscnt 0x1
	v_lshrrev_b32_e32 v184, 16, v170
	v_lshrrev_b32_e32 v185, 16, v169
	;; [unrolled: 1-line block ×3, first 2 shown]
	s_wait_dscnt 0x0
	v_lshrrev_b32_e32 v187, 16, v59
	v_lshrrev_b32_e32 v173, 16, v69
	;; [unrolled: 1-line block ×7, first 2 shown]
	s_wait_loadcnt 0x6
	v_lshrrev_b32_e32 v156, 16, v41
	v_lshrrev_b32_e32 v155, 16, v42
	s_wait_loadcnt 0x4
	v_lshrrev_b32_e32 v154, 16, v43
	v_lshrrev_b32_e32 v153, 16, v44
	;; [unrolled: 3-line block ×3, first 2 shown]
	v_lshrrev_b32_e32 v150, 16, v47
	v_lshrrev_b32_e32 v149, 16, v48
	s_wait_loadcnt 0x2
	v_lshrrev_b32_e32 v148, 16, v49
	v_lshrrev_b32_e32 v147, 16, v50
	s_wait_loadcnt 0x1
	;; [unrolled: 3-line block ×3, first 2 shown]
	v_lshrrev_b32_e32 v144, 16, v37
	v_lshrrev_b32_e32 v143, 16, v38
	v_mul_f16_e64 v188, v157, v156
	v_mul_f16_e64 v189, v54, v156
	;; [unrolled: 1-line block ×28, first 2 shown]
	v_fma_f16 v54, v54, v41, -v188
	v_fmac_f16_e64 v189, v157, v41
	v_fma_f16 v51, v51, v42, -v190
	v_fmac_f16_e64 v191, v163, v42
	;; [unrolled: 2-line block ×14, first 2 shown]
	v_add_f16_e64 v171, v54, v51
	v_add_f16_e64 v177, v189, v191
	;; [unrolled: 1-line block ×8, first 2 shown]
	v_sub_f16_e64 v181, v193, v195
	v_add_f16_e64 v182, v173, v193
	v_sub_f16_e64 v186, v197, v199
	v_add_f16_e64 v187, v176, v197
	v_add_f16_e64 v190, v161, v162
	v_sub_f16_e64 v192, v201, v203
	v_add_f16_e64 v193, v179, v201
	v_add_f16_e64 v194, v201, v203
	;; [unrolled: 1-line block ×7, first 2 shown]
	v_sub_f16_e64 v174, v189, v191
	v_sub_f16_e32 v54, v54, v51
	v_sub_f16_e64 v184, v57, v52
	v_add_f16_e64 v57, v164, v58
	v_add_f16_e64 v202, v56, v167
	;; [unrolled: 1-line block ×3, first 2 shown]
	v_sub_f16_e64 v212, v213, v215
	v_add_f16_e64 v214, v158, v213
	v_add_f16_e64 v213, v213, v215
	v_fma_f16 v68, -0.5, v171, v68
	v_fmac_f16_e64 v172, -0.5, v177
	v_sub_f16_e64 v58, v58, v157
	v_fmac_f16_e64 v69, -0.5, v180
	v_fmac_f16_e64 v173, -0.5, v183
	v_fma_f16 v180, -0.5, v185, v164
	v_fmac_f16_e64 v176, -0.5, v188
	v_add_f16_e64 v189, v165, v161
	v_sub_f16_e64 v196, v161, v162
	v_add_f16_e64 v161, v55, v163
	v_sub_f16_e64 v198, v205, v207
	;; [unrolled: 2-line block ×3, first 2 shown]
	v_sub_f16_e64 v205, v209, v211
	v_add_f16_e64 v206, v159, v209
	v_sub_f16_e64 v167, v167, v168
	v_add_f16_e64 v209, v53, v169
	v_add_f16_e64 v171, v175, v191
	;; [unrolled: 1-line block ×3, first 2 shown]
	v_fmac_f16_e64 v165, -0.5, v190
	v_fmac_f16_e64 v179, -0.5, v194
	v_fma_f16 v52, -0.5, v197, v55
	v_fmac_f16_e64 v160, -0.5, v201
	v_fmac_f16_e64 v56, -0.5, v204
	;; [unrolled: 1-line block ×3, first 2 shown]
	v_sub_f16_e64 v169, v169, v59
	v_add_f16_e64 v178, v57, v157
	v_add_f16_e64 v57, v202, v168
	v_fmac_f16_e64 v53, -0.5, v210
	v_fmac_f16_e64 v158, -0.5, v213
	v_fma_f16 v168, 0x3aee, v174, v68
	v_fmac_f16_e64 v68, 0xbaee, v174
	v_fma_f16 v174, 0xbaee, v54, v172
	v_fmac_f16_e64 v172, 0x3aee, v54
	v_add_f16_e64 v170, v170, v51
	v_add_f16_e64 v177, v182, v195
	v_fma_f16 v54, 0x3aee, v181, v69
	v_fmac_f16_e64 v69, 0xbaee, v181
	v_fma_f16 v181, 0xbaee, v184, v173
	v_fmac_f16_e64 v173, 0x3aee, v184
	;; [unrolled: 2-line block ×3, first 2 shown]
	v_fma_f16 v186, 0xbaee, v58, v176
	v_add_f16_e64 v182, v187, v199
	v_add_f16_e64 v183, v189, v162
	;; [unrolled: 1-line block ×7, first 2 shown]
	v_fmac_f16_e64 v176, 0x3aee, v58
	v_fma_f16 v188, 0x3aee, v192, v165
	v_fmac_f16_e64 v165, 0xbaee, v192
	v_fma_f16 v189, 0xbaee, v196, v179
	;; [unrolled: 2-line block ×5, first 2 shown]
	v_fma_f16 v164, 0xbaee, v167, v159
	v_add_f16_e64 v187, v200, v207
	v_fmac_f16_e64 v56, 0xbaee, v205
	v_fmac_f16_e64 v159, 0x3aee, v167
	v_fma_f16 v59, 0x3aee, v212, v53
	v_fmac_f16_e64 v53, 0xbaee, v212
	v_fma_f16 v163, 0xbaee, v169, v158
	v_fmac_f16_e64 v158, 0x3aee, v169
	v_pack_b32_f16 v168, v168, v174
	v_pack_b32_f16 v68, v68, v172
	;; [unrolled: 1-line block ×21, first 2 shown]
	ds_store_b32 v73, v168 offset:2548
	ds_store_b32 v73, v68 offset:5096
	ds_store_2addr_b32 v73, v167, v169 offset1:91
	ds_store_2addr_b32 v61, v54, v172 offset0:88 offset1:179
	ds_store_2addr_b32 v70, v69, v173 offset0:85 offset1:176
	;; [unrolled: 1-line block ×6, first 2 shown]
	ds_store_b32 v73, v177 offset:2184
	ds_store_2addr_b32 v64, v179, v181 offset0:68 offset1:159
	ds_store_2addr_b32 v72, v180, v182 offset0:65 offset1:156
	global_wb scope:SCOPE_SE
	s_wait_dscnt 0x0
	s_barrier_signal -1
	s_barrier_wait -1
	global_inv scope:SCOPE_SE
	s_clause 0xc
	global_load_b32 v54, v[20:21], off offset:7644
	global_load_b32 v66, v73, s[0:1] offset:588
	global_load_b32 v70, v73, s[0:1] offset:1764
	;; [unrolled: 1-line block ×12, first 2 shown]
	ds_load_2addr_b32 v[64:65], v73 offset1:147
	s_wait_dscnt 0x0
	v_lshrrev_b32_e32 v68, 16, v64
	v_lshrrev_b32_e32 v165, 16, v65
	s_wait_loadcnt 0xc
	v_lshrrev_b32_e32 v69, 16, v54
	s_wait_loadcnt 0xb
	;; [unrolled: 2-line block ×4, first 2 shown]
	v_lshrrev_b32_e32 v181, 16, v171
	v_mul_f16_e64 v167, v68, v69
	v_mul_f16_e32 v69, v64, v69
	v_mul_f16_e64 v168, v165, v166
	v_mul_f16_e64 v166, v65, v166
	s_wait_loadcnt 0x3
	v_lshrrev_b32_e32 v187, 16, v176
	v_fma_f16 v64, v64, v54, -v167
	v_fmac_f16_e32 v69, v68, v54
	v_fma_f16 v54, v65, v66, -v168
	v_fmac_f16_e64 v166, v165, v66
	v_lshrrev_b32_e32 v66, 16, v70
	v_lshrrev_b32_e32 v182, 16, v172
	v_pack_b32_f16 v64, v64, v69
	v_lshrrev_b32_e32 v183, 16, v173
	v_pack_b32_f16 v54, v54, v166
	v_lshrrev_b32_e32 v184, 16, v174
	v_lshrrev_b32_e32 v185, 16, v175
	s_wait_loadcnt 0x2
	v_lshrrev_b32_e32 v188, 16, v177
	s_wait_loadcnt 0x1
	v_lshrrev_b32_e32 v189, 16, v178
	ds_store_2addr_b32 v73, v64, v54 offset1:147
	v_add_nc_u32_e32 v54, 0xd00, v73
	ds_load_2addr_b32 v[64:65], v63 offset0:38 offset1:185
	ds_load_2addr_b32 v[68:69], v60 offset0:76 offset1:223
	;; [unrolled: 1-line block ×5, first 2 shown]
	ds_load_b32 v186, v73 offset:7056
	s_wait_loadcnt 0x0
	v_lshrrev_b32_e32 v190, 16, v179
	s_wait_dscnt 0x5
	v_lshrrev_b32_e32 v191, 16, v64
	v_lshrrev_b32_e32 v193, 16, v65
	s_wait_dscnt 0x4
	v_lshrrev_b32_e32 v195, 16, v68
	;; [unrolled: 3-line block ×3, first 2 shown]
	v_lshrrev_b32_e32 v201, 16, v166
	v_lshrrev_b32_e32 v203, 16, v167
	;; [unrolled: 1-line block ×5, first 2 shown]
	v_mul_f16_e64 v192, v64, v187
	v_mul_f16_e64 v194, v65, v66
	s_wait_dscnt 0x0
	v_lshrrev_b32_e32 v211, 16, v186
	v_mul_f16_e64 v187, v191, v187
	v_mul_f16_e64 v66, v193, v66
	;; [unrolled: 1-line block ×19, first 2 shown]
	v_fmac_f16_e64 v192, v191, v176
	v_fmac_f16_e64 v194, v193, v70
	v_mul_f16_e64 v190, v211, v190
	v_fma_f16 v64, v64, v176, -v187
	v_fma_f16 v65, v65, v70, -v66
	v_fmac_f16_e64 v196, v195, v72
	v_fmac_f16_e64 v198, v197, v171
	v_fma_f16 v66, v68, v72, -v180
	v_fma_f16 v68, v69, v171, -v181
	v_fmac_f16_e64 v200, v199, v172
	v_fmac_f16_e64 v202, v201, v173
	;; [unrolled: 4-line block ×4, first 2 shown]
	v_fma_f16 v166, v169, v177, -v188
	v_fma_f16 v167, v170, v178, -v189
	v_fmac_f16_e64 v212, v211, v179
	v_fma_f16 v168, v186, v179, -v190
	v_pack_b32_f16 v64, v64, v192
	v_pack_b32_f16 v65, v65, v194
	;; [unrolled: 1-line block ×11, first 2 shown]
	ds_store_2addr_b32 v63, v64, v65 offset0:38 offset1:185
	ds_store_2addr_b32 v60, v66, v68 offset0:76 offset1:223
	;; [unrolled: 1-line block ×5, first 2 shown]
	ds_store_b32 v73, v168 offset:7056
	s_and_saveexec_b32 s2, vcc_lo
	s_cbranch_execz .LBB0_9
; %bb.8:
	s_wait_alu 0xfffe
	v_add_co_u32 v64, s0, s0, v73
	s_wait_alu 0xf1ff
	v_add_co_ci_u32_e64 v65, null, s1, 0, s0
	v_add_nc_u32_e32 v183, 0x600, v73
	v_add_nc_u32_e32 v184, 0xe00, v73
	;; [unrolled: 1-line block ×3, first 2 shown]
	s_clause 0xc
	global_load_b32 v66, v[64:65], off offset:364
	global_load_b32 v70, v[64:65], off offset:952
	;; [unrolled: 1-line block ×13, first 2 shown]
	ds_load_2addr_b32 v[64:65], v73 offset0:91 offset1:238
	ds_load_2addr_b32 v[68:69], v61 offset0:39 offset1:186
	;; [unrolled: 1-line block ×3, first 2 shown]
	ds_load_b32 v186, v73 offset:7420
	ds_load_2addr_b32 v[167:168], v183 offset0:1 offset1:148
	ds_load_2addr_b32 v[169:170], v184 offset0:77 offset1:224
	;; [unrolled: 1-line block ×3, first 2 shown]
	s_wait_dscnt 0x3
	v_lshrrev_b32_e32 v193, 16, v186
	v_lshrrev_b32_e32 v187, 16, v64
	v_lshrrev_b32_e32 v188, 16, v65
	s_wait_dscnt 0x2
	v_lshrrev_b32_e32 v194, 16, v167
	v_lshrrev_b32_e32 v195, 16, v168
	;; [unrolled: 1-line block ×4, first 2 shown]
	s_wait_dscnt 0x1
	v_lshrrev_b32_e32 v196, 16, v169
	v_lshrrev_b32_e32 v197, 16, v170
	s_wait_dscnt 0x0
	v_lshrrev_b32_e32 v198, 16, v171
	v_lshrrev_b32_e32 v199, 16, v172
	;; [unrolled: 1-line block ×4, first 2 shown]
	s_wait_loadcnt 0xc
	v_lshrrev_b32_e32 v200, 16, v66
	s_wait_loadcnt 0xb
	v_lshrrev_b32_e32 v201, 16, v70
	s_wait_loadcnt 0xa
	v_lshrrev_b32_e32 v202, 16, v72
	s_wait_loadcnt 0x9
	v_lshrrev_b32_e32 v203, 16, v173
	s_wait_loadcnt 0x8
	v_lshrrev_b32_e32 v204, 16, v174
	s_wait_loadcnt 0x7
	v_lshrrev_b32_e32 v205, 16, v175
	s_wait_loadcnt 0x6
	v_lshrrev_b32_e32 v206, 16, v176
	s_wait_loadcnt 0x5
	v_lshrrev_b32_e32 v207, 16, v177
	s_wait_loadcnt 0x4
	v_lshrrev_b32_e32 v208, 16, v178
	s_wait_loadcnt 0x3
	v_lshrrev_b32_e32 v209, 16, v179
	s_wait_loadcnt 0x2
	v_lshrrev_b32_e32 v210, 16, v180
	s_wait_loadcnt 0x1
	v_lshrrev_b32_e32 v211, 16, v181
	s_wait_loadcnt 0x0
	v_lshrrev_b32_e32 v212, 16, v182
	v_mul_f16_e64 v213, v187, v200
	v_mul_f16_e64 v200, v64, v200
	;; [unrolled: 1-line block ×26, first 2 shown]
	v_fma_f16 v64, v64, v66, -v213
	v_fmac_f16_e64 v200, v187, v66
	v_fma_f16 v65, v65, v70, -v214
	v_fmac_f16_e64 v201, v188, v70
	;; [unrolled: 2-line block ×13, first 2 shown]
	v_pack_b32_f16 v64, v64, v200
	v_pack_b32_f16 v65, v65, v201
	;; [unrolled: 1-line block ×13, first 2 shown]
	ds_store_2addr_b32 v73, v64, v65 offset0:91 offset1:238
	ds_store_2addr_b32 v183, v66, v70 offset0:1 offset1:148
	;; [unrolled: 1-line block ×6, first 2 shown]
	ds_store_b32 v73, v170 offset:7420
.LBB0_9:
	s_wait_alu 0xfffe
	s_or_b32 exec_lo, exec_lo, s2
	global_wb scope:SCOPE_SE
	s_wait_dscnt 0x0
	s_barrier_signal -1
	s_barrier_wait -1
	global_inv scope:SCOPE_SE
	ds_load_2addr_b32 v[61:62], v73 offset1:147
	ds_load_2addr_b32 v[69:70], v63 offset0:38 offset1:185
	ds_load_2addr_b32 v[65:66], v60 offset0:76 offset1:223
	;; [unrolled: 1-line block ×5, first 2 shown]
	ds_load_b32 v167, v73 offset:7056
	s_and_saveexec_b32 s0, vcc_lo
	s_cbranch_execz .LBB0_11
; %bb.10:
	v_add_nc_u32_e32 v23, 0x600, v73
	v_add_nc_u32_e32 v24, 0xa00, v73
	;; [unrolled: 1-line block ×3, first 2 shown]
	ds_load_2addr_b32 v[51:52], v73 offset0:91 offset1:238
	ds_load_b32 v103, v73 offset:7420
	ds_load_2addr_b32 v[57:58], v23 offset0:1 offset1:148
	v_add_nc_u32_e32 v23, 0x1300, v73
	ds_load_2addr_b32 v[54:55], v24 offset0:39 offset1:186
	v_add_nc_u32_e32 v24, 0x1800, v73
	ds_load_2addr_b32 v[59:60], v25 offset0:77 offset1:224
	ds_load_2addr_b32 v[25:26], v23 offset0:51 offset1:198
	;; [unrolled: 1-line block ×3, first 2 shown]
	s_wait_dscnt 0x6
	v_lshrrev_b32_e32 v157, 16, v51
	v_lshrrev_b32_e32 v160, 16, v52
	s_wait_dscnt 0x5
	v_lshrrev_b32_e32 v105, 16, v103
	s_wait_dscnt 0x4
	v_lshrrev_b32_e32 v162, 16, v57
	v_lshrrev_b32_e32 v164, 16, v58
	s_wait_dscnt 0x2
	v_mov_b32_e32 v53, v60
	v_lshrrev_b32_e32 v159, 16, v54
	v_lshrrev_b32_e32 v161, 16, v55
	;; [unrolled: 1-line block ×4, first 2 shown]
	s_wait_dscnt 0x1
	v_lshrrev_b32_e32 v108, 16, v25
	v_lshrrev_b32_e32 v107, 16, v26
	s_wait_dscnt 0x0
	v_lshrrev_b32_e32 v106, 16, v23
	v_lshrrev_b32_e32 v104, 16, v24
	v_mov_b32_e32 v56, v54
.LBB0_11:
	s_wait_alu 0xfffe
	s_or_b32 exec_lo, exec_lo, s0
	s_wait_dscnt 0x6
	v_pk_add_f16 v54, v61, v62
	s_wait_dscnt 0x0
	v_pk_add_f16 v165, v62, v167 neg_lo:[0,1] neg_hi:[0,1]
	v_pk_add_f16 v166, v167, v62
	v_lshrrev_b32_e32 v168, 16, v61
	global_wb scope:SCOPE_SE
	v_pk_add_f16 v54, v54, v69
	v_pk_mul_f16 v60, 0xb770, v165 op_sel_hi:[0,1]
	v_lshrrev_b32_e32 v169, 16, v165
	v_lshrrev_b32_e32 v170, 16, v166
	s_barrier_signal -1
	v_pk_add_f16 v62, v54, v70
	v_pk_fma_f16 v54, 0x3b15, v166, v60 op_sel:[0,0,1] op_sel_hi:[0,1,0]
	v_pk_fma_f16 v60, 0x3b15, v166, v60 op_sel:[0,0,1] op_sel_hi:[0,1,0] neg_lo:[0,0,1] neg_hi:[0,0,1]
	v_mul_f16_e64 v171, 0xba95, v169
	v_mul_f16_e64 v172, 0x388b, v170
	v_pk_add_f16 v62, v62, v65
	v_mul_f16_e64 v174, 0x2fb7, v170
	v_mul_f16_e64 v176, 0xb5ac, v170
	;; [unrolled: 1-line block ×3, first 2 shown]
	v_bfi_b32 v177, 0xffff, v54, v60
	v_pk_add_f16 v62, v62, v66
	v_mul_f16_e64 v173, 0xbbf1, v169
	v_fma_f16 v178, 0x388b, v166, v171
	v_fma_f16 v179, 0x3a95, v165, v172
	v_fma_f16 v171, v166, 0x388b, -v171
	v_pk_add_f16 v62, v62, v63
	v_fmac_f16_e64 v172, 0xba95, v165
	v_fma_f16 v181, 0x3bf1, v165, v174
	v_fmac_f16_e64 v174, 0xbbf1, v165
	v_fma_f16 v183, 0x3b7b, v165, v176
	v_pk_add_f16 v62, v62, v64
	v_pk_add_f16 v177, v61, v177
	v_fmac_f16_e64 v176, 0xbb7b, v165
	v_fma_f16 v185, 0x394e, v165, v170
	v_fmac_f16_e64 v170, 0xb94e, v165
	v_pk_add_f16 v62, v62, v67
	v_mul_f16_e64 v175, 0xbb7b, v169
	v_fma_f16 v180, 0x2fb7, v166, v173
	v_fma_f16 v173, v166, 0x2fb7, -v173
	v_add_f16_e64 v178, v61, v178
	v_pk_add_f16 v62, v62, v68
	v_add_f16_e64 v179, v168, v179
	v_add_f16_e64 v171, v61, v171
	;; [unrolled: 1-line block ×4, first 2 shown]
	v_pk_add_f16 v62, v62, v71
	v_add_f16_e64 v174, v168, v174
	v_add_f16_e64 v183, v168, v183
	v_add_f16_e64 v176, v168, v176
	v_add_f16_e64 v185, v168, v185
	v_pk_add_f16 v62, v62, v72
	v_add_f16_e64 v168, v168, v170
	v_mul_f16_e64 v169, 0xb94e, v169
	v_fma_f16 v182, 0xb5ac, v166, v175
	v_fma_f16 v175, v166, 0xb5ac, -v175
	v_pk_add_f16 v62, v62, v167
	v_pk_add_f16 v167, v69, v72 neg_lo:[0,1] neg_hi:[0,1]
	v_pk_add_f16 v69, v72, v69
	v_add_f16_e64 v173, v61, v173
	v_add_f16_e64 v180, v61, v180
	;; [unrolled: 1-line block ×3, first 2 shown]
	v_pk_mul_f16 v72, 0xba95, v167 op_sel_hi:[0,1]
	v_lshrrev_b32_e32 v186, 16, v167
	v_lshrrev_b32_e32 v189, 16, v69
	v_add_f16_e64 v175, v61, v175
	v_fma_f16 v184, 0xb9fd, v166, v169
	v_pk_fma_f16 v187, 0x388b, v69, v72 op_sel:[0,0,1] op_sel_hi:[0,1,0]
	v_pk_fma_f16 v72, 0x388b, v69, v72 op_sel:[0,0,1] op_sel_hi:[0,1,0] neg_lo:[0,0,1] neg_hi:[0,0,1]
	v_mul_f16_e64 v188, 0xbb7b, v186
	v_mul_f16_e64 v192, 0xb5ac, v189
	;; [unrolled: 1-line block ×3, first 2 shown]
	v_add_f16_e64 v184, v61, v184
	v_bfi_b32 v190, 0xffff, v187, v72
	v_fma_f16 v191, 0xb5ac, v69, v188
	v_fma_f16 v188, v69, 0xb5ac, -v188
	v_fma_f16 v169, v166, 0xb9fd, -v169
	v_pk_mul_f16 v166, 0xbbc4, v166 op_sel_hi:[0,1]
	v_pk_add_f16 v170, v190, v177
	v_mul_f16_e64 v177, 0xb3a8, v186
	v_fma_f16 v190, 0x3b7b, v167, v192
	v_add_f16_e64 v178, v191, v178
	v_add_f16_e64 v171, v188, v171
	v_fma_f16 v188, 0x33a8, v167, v193
	v_fma_f16 v191, 0xbbc4, v69, v177
	v_add_f16_e64 v179, v190, v179
	v_mul_f16_e64 v190, 0x394e, v186
	v_fma_f16 v177, v69, 0xbbc4, -v177
	v_add_f16_e64 v181, v188, v181
	v_mul_f16_e64 v186, 0x3bf1, v186
	v_fmac_f16_e64 v192, 0xbb7b, v167
	v_fma_f16 v188, 0xb9fd, v69, v190
	v_add_f16_e64 v173, v177, v173
	v_fma_f16 v177, v69, 0xb9fd, -v190
	v_add_f16_e64 v180, v191, v180
	v_mul_f16_e64 v191, 0xb9fd, v189
	v_add_f16_e64 v182, v188, v182
	v_mul_f16_e64 v188, 0x2fb7, v189
	v_add_f16_e64 v175, v177, v175
	v_pk_add_f16 v177, v70, v71 neg_lo:[0,1] neg_hi:[0,1]
	v_fma_f16 v189, 0x2fb7, v69, v186
	v_add_f16_e64 v172, v192, v172
	v_fma_f16 v192, 0xb94e, v167, v191
	v_fmac_f16_e64 v191, 0x394e, v167
	v_pk_add_f16 v70, v71, v70
	v_add_f16_e64 v184, v189, v184
	v_lshrrev_b32_e32 v189, 16, v177
	v_add_f16_e64 v169, v61, v169
	v_add_f16_e64 v183, v192, v183
	;; [unrolled: 1-line block ×3, first 2 shown]
	v_fma_f16 v186, v69, 0x2fb7, -v186
	v_mul_f16_e64 v191, 0xb3a8, v189
	v_lshrrev_b32_e32 v192, 16, v70
	v_fma_f16 v190, 0xbbf1, v167, v188
	v_pk_mul_f16 v71, 0xbbf1, v177 op_sel_hi:[0,1]
	v_add_f16_e64 v169, v186, v169
	v_fma_f16 v186, 0xbbc4, v70, v191
	v_mul_f16_e64 v194, 0xbbc4, v192
	v_fmac_f16_e64 v193, 0xb3a8, v167
	v_add_f16_e64 v185, v190, v185
	v_pk_fma_f16 v190, 0x2fb7, v70, v71 op_sel:[0,0,1] op_sel_hi:[0,1,0]
	v_pk_fma_f16 v71, 0x2fb7, v70, v71 op_sel:[0,0,1] op_sel_hi:[0,1,0] neg_lo:[0,0,1] neg_hi:[0,0,1]
	v_fmac_f16_e64 v188, 0x3bf1, v167
	v_add_f16_e64 v178, v186, v178
	v_fma_f16 v186, 0x33a8, v177, v194
	v_fma_f16 v191, v70, 0xbbc4, -v191
	v_mul_f16_e64 v195, 0xb5ac, v192
	v_add_f16_e64 v174, v193, v174
	v_bfi_b32 v193, 0xffff, v190, v71
	v_add_f16_e64 v168, v188, v168
	v_mul_f16_e64 v188, 0x3b7b, v189
	v_add_f16_e64 v179, v186, v179
	v_add_f16_e64 v171, v191, v171
	v_fma_f16 v186, 0xbb7b, v177, v195
	v_mul_f16_e64 v191, 0x3770, v189
	v_pk_add_f16 v170, v193, v170
	v_fma_f16 v193, 0xb5ac, v70, v188
	v_fma_f16 v188, v70, 0xb5ac, -v188
	v_add_f16_e64 v181, v186, v181
	v_fma_f16 v186, 0x3b15, v70, v191
	v_fmac_f16_e64 v194, 0xb3a8, v177
	v_add_f16_e64 v180, v193, v180
	v_add_f16_e64 v173, v188, v173
	v_fma_f16 v188, v70, 0x3b15, -v191
	v_add_f16_e64 v182, v186, v182
	v_mul_f16_e64 v186, 0xba95, v189
	v_mul_f16_e64 v193, 0x3b15, v192
	v_add_f16_e64 v172, v194, v172
	v_add_f16_e64 v175, v188, v175
	v_pk_add_f16 v188, v65, v68 neg_lo:[0,1] neg_hi:[0,1]
	v_fma_f16 v191, 0x388b, v70, v186
	v_fma_f16 v194, 0xb770, v177, v193
	v_fmac_f16_e64 v193, 0x3770, v177
	v_pk_add_f16 v65, v68, v65
	v_mul_f16_e64 v189, 0x388b, v192
	v_add_f16_e64 v184, v191, v184
	v_lshrrev_b32_e32 v191, 16, v188
	v_add_f16_e64 v183, v194, v183
	v_add_f16_e64 v176, v193, v176
	v_fma_f16 v186, v70, 0x388b, -v186
	v_lshrrev_b32_e32 v194, 16, v65
	v_mul_f16_e64 v193, 0x394e, v191
	v_fma_f16 v192, 0x3a95, v177, v189
	v_pk_mul_f16 v68, 0xbb7b, v188 op_sel_hi:[0,1]
	v_add_f16_e64 v169, v186, v169
	v_mul_f16_e64 v196, 0xb9fd, v194
	v_fma_f16 v186, 0xb9fd, v65, v193
	v_fmac_f16_e64 v195, 0x3b7b, v177
	v_add_f16_e64 v185, v192, v185
	v_pk_fma_f16 v192, 0xb5ac, v65, v68 op_sel:[0,0,1] op_sel_hi:[0,1,0]
	v_pk_fma_f16 v68, 0xb5ac, v65, v68 op_sel:[0,0,1] op_sel_hi:[0,1,0] neg_lo:[0,0,1] neg_hi:[0,0,1]
	v_fmac_f16_e64 v189, 0xba95, v177
	v_add_f16_e64 v178, v186, v178
	v_fma_f16 v186, 0xb94e, v188, v196
	v_fma_f16 v193, v65, 0xb9fd, -v193
	v_mul_f16_e64 v197, 0x3b15, v194
	v_add_f16_e64 v174, v195, v174
	v_bfi_b32 v195, 0xffff, v192, v68
	v_add_f16_e64 v168, v189, v168
	v_mul_f16_e64 v189, 0x3770, v191
	v_add_f16_e64 v179, v186, v179
	v_add_f16_e64 v171, v193, v171
	v_fma_f16 v186, 0xb770, v188, v197
	v_mul_f16_e64 v193, 0xbbf1, v191
	v_pk_add_f16 v170, v195, v170
	v_fma_f16 v195, 0x3b15, v65, v189
	v_fma_f16 v189, v65, 0x3b15, -v189
	v_add_f16_e64 v181, v186, v181
	v_fma_f16 v186, 0x2fb7, v65, v193
	v_fmac_f16_e64 v196, 0x394e, v188
	v_add_f16_e64 v180, v195, v180
	v_add_f16_e64 v173, v189, v173
	v_fma_f16 v189, v65, 0x2fb7, -v193
	v_add_f16_e64 v182, v186, v182
	v_mul_f16_e64 v186, 0x33a8, v191
	v_mul_f16_e64 v195, 0x2fb7, v194
	v_add_f16_e64 v172, v196, v172
	v_add_f16_e64 v175, v189, v175
	v_pk_add_f16 v189, v66, v67 neg_lo:[0,1] neg_hi:[0,1]
	v_fma_f16 v193, 0xbbc4, v65, v186
	v_fma_f16 v196, 0x3bf1, v188, v195
	v_mul_f16_e64 v191, 0xbbc4, v194
	v_fmac_f16_e64 v195, 0xbbf1, v188
	v_pk_add_f16 v66, v67, v66
	v_add_f16_e64 v184, v193, v184
	v_lshrrev_b32_e32 v193, 16, v189
	v_add_f16_e64 v183, v196, v183
	v_fma_f16 v194, 0xb3a8, v188, v191
	v_pk_mul_f16 v67, 0xb94e, v189 op_sel_hi:[0,1]
	v_add_f16_e64 v176, v195, v176
	v_fma_f16 v186, v65, 0xbbc4, -v186
	v_mul_f16_e64 v195, 0x3bf1, v193
	v_lshrrev_b32_e32 v196, 16, v66
	v_fmac_f16_e64 v197, 0x3770, v188
	v_add_f16_e64 v185, v194, v185
	v_pk_fma_f16 v194, 0xb9fd, v66, v67 op_sel:[0,0,1] op_sel_hi:[0,1,0]
	v_pk_fma_f16 v67, 0xb9fd, v66, v67 op_sel:[0,0,1] op_sel_hi:[0,1,0] neg_lo:[0,0,1] neg_hi:[0,0,1]
	v_fmac_f16_e64 v191, 0x33a8, v188
	v_add_f16_e64 v169, v186, v169
	v_fma_f16 v186, 0x2fb7, v66, v195
	v_mul_f16_e64 v198, 0x2fb7, v196
	v_add_f16_e64 v174, v197, v174
	v_bfi_b32 v197, 0xffff, v194, v67
	v_add_f16_e64 v168, v191, v168
	v_mul_f16_e64 v191, 0xba95, v193
	v_add_f16_e64 v178, v186, v178
	v_fma_f16 v186, 0xbbf1, v189, v198
	v_fma_f16 v195, v66, 0x2fb7, -v195
	v_mul_f16_e64 v199, 0x388b, v196
	v_pk_add_f16 v170, v197, v170
	v_fma_f16 v197, 0x388b, v66, v191
	v_add_f16_e64 v179, v186, v179
	v_add_f16_e64 v171, v195, v171
	v_fma_f16 v186, 0x3a95, v189, v199
	v_mul_f16_e64 v195, 0x33a8, v193
	v_fma_f16 v191, v66, 0x388b, -v191
	v_fmac_f16_e64 v198, 0x3bf1, v189
	v_add_f16_e64 v180, v197, v180
	v_add_f16_e64 v181, v186, v181
	v_fma_f16 v186, 0xbbc4, v66, v195
	v_add_f16_e64 v173, v191, v173
	v_fma_f16 v191, v66, 0xbbc4, -v195
	v_mul_f16_e64 v197, 0xbbc4, v196
	v_add_f16_e64 v172, v198, v172
	v_add_f16_e64 v182, v186, v182
	v_mul_f16_e64 v186, 0x3770, v193
	v_mul_f16_e64 v193, 0x3b15, v196
	v_add_f16_e64 v175, v191, v175
	v_pk_add_f16 v191, v63, v64 neg_lo:[0,1] neg_hi:[0,1]
	v_fma_f16 v198, 0xb3a8, v189, v197
	v_fmac_f16_e64 v197, 0x33a8, v189
	v_fma_f16 v195, 0x3b15, v66, v186
	v_fma_f16 v196, 0xb770, v189, v193
	v_pk_add_f16 v63, v64, v63
	v_pk_mul_f16 v64, 0xb3a8, v191 op_sel_hi:[0,1]
	v_fmac_f16_e64 v199, 0xba95, v189
	v_add_f16_e64 v176, v197, v176
	v_add_f16_e64 v184, v195, v184
	v_add_f16_e64 v185, v196, v185
	v_lshrrev_b32_e32 v195, 16, v191
	v_pk_fma_f16 v196, 0xbbc4, v63, v64 op_sel:[0,0,1] op_sel_hi:[0,1,0]
	v_pk_fma_f16 v64, 0xbbc4, v63, v64 op_sel:[0,0,1] op_sel_hi:[0,1,0] neg_lo:[0,0,1] neg_hi:[0,0,1]
	v_fma_f16 v186, v66, 0x3b15, -v186
	v_lshrrev_b32_e32 v197, 16, v63
	v_add_f16_e64 v174, v199, v174
	v_add_f16_e64 v183, v198, v183
	v_mul_f16_e64 v198, 0x3770, v195
	v_fmac_f16_e64 v193, 0x3770, v189
	v_bfi_b32 v199, 0xffff, v196, v64
	v_add_f16_e64 v169, v186, v169
	v_mul_f16_e64 v186, 0x3b15, v197
	v_fma_f16 v200, 0x3b15, v63, v198
	v_add_f16_e64 v168, v193, v168
	v_pk_add_f16 v170, v199, v170
	v_mul_f16_e64 v193, 0xb94e, v195
	v_fma_f16 v199, 0xb770, v191, v186
	v_fmac_f16_e64 v186, 0x3770, v191
	v_add_f16_e64 v178, v200, v178
	v_fma_f16 v198, v63, 0x3b15, -v198
	v_fma_f16 v200, 0xb9fd, v63, v193
	v_fma_f16 v193, v63, 0xb9fd, -v193
	v_add_f16_e64 v172, v186, v172
	v_mul_f16_e64 v186, 0x3a95, v195
	v_mul_f16_e64 v195, 0xbb7b, v195
	v_add_f16_e64 v180, v200, v180
	v_mul_f16_e64 v200, 0x388b, v197
	v_add_f16_e64 v179, v199, v179
	v_fma_f16 v201, 0x388b, v63, v186
	v_fma_f16 v186, v63, 0x388b, -v186
	v_mul_f16_e64 v199, 0xb9fd, v197
	v_add_f16_e64 v173, v193, v173
	v_fma_f16 v193, 0xba95, v191, v200
	v_add_f16_e64 v171, v198, v171
	v_add_f16_e64 v175, v186, v175
	v_fma_f16 v186, 0xb5ac, v63, v195
	v_fma_f16 v198, 0x394e, v191, v199
	v_add_f16_e64 v183, v193, v183
	v_mul_f16_e64 v193, 0xb5ac, v197
	v_fma_f16 v195, v63, 0xb5ac, -v195
	v_add_f16_e64 v184, v186, v184
	v_pk_fma_f16 v186, 0xb3a8, v165, v166 op_sel:[0,0,1] op_sel_hi:[0,1,0]
	v_pk_mul_f16 v69, 0x3b15, v69 op_sel_hi:[0,1]
	v_add_f16_e64 v181, v198, v181
	v_fma_f16 v197, 0x3b7b, v191, v193
	v_fmac_f16_e64 v193, 0xbb7b, v191
	v_add_f16_e64 v169, v195, v169
	v_alignbit_b32 v195, s0, v186, 16
	v_pk_fma_f16 v165, 0xb3a8, v165, v166 op_sel:[0,0,1] op_sel_hi:[0,1,0] neg_lo:[0,1,0] neg_hi:[0,1,0]
	v_pk_fma_f16 v166, 0x3770, v167, v69 op_sel:[0,0,1] op_sel_hi:[0,1,0]
	v_pk_mul_f16 v70, 0xb9fd, v70 op_sel_hi:[0,1]
	v_add_f16_e64 v168, v193, v168
	v_pack_b32_f16 v180, v180, v181
	v_pk_add_f16 v181, v61, v195
	v_alignbit_b32 v193, s0, v61, 16
	v_pk_add_f16 v165, v61, v165 op_sel:[1,0] op_sel_hi:[0,1]
	v_alignbit_b32 v195, s0, v166, 16
	v_pk_fma_f16 v69, 0x3770, v167, v69 op_sel:[0,0,1] op_sel_hi:[0,1,0] neg_lo:[0,1,0] neg_hi:[0,1,0]
	v_pk_fma_f16 v167, 0xb94e, v177, v70 op_sel:[0,0,1] op_sel_hi:[0,1,0]
	v_pk_mul_f16 v65, 0x388b, v65 op_sel_hi:[0,1]
	v_pk_add_f16 v186, v193, v186
	v_pk_add_f16 v181, v195, v181
	;; [unrolled: 1-line block ×3, first 2 shown]
	v_alignbit_b32 v165, s0, v167, 16
	v_pk_fma_f16 v70, 0xb94e, v177, v70 op_sel:[0,0,1] op_sel_hi:[0,1,0] neg_lo:[0,1,0] neg_hi:[0,1,0]
	v_pk_fma_f16 v177, 0x3a95, v188, v65 op_sel:[0,0,1] op_sel_hi:[0,1,0]
	v_pk_mul_f16 v66, 0xb5ac, v66 op_sel_hi:[0,1]
	v_bfi_b32 v54, 0xffff, v60, v54
	v_pk_add_f16 v166, v166, v186
	v_pk_add_f16 v165, v165, v181
	;; [unrolled: 1-line block ×3, first 2 shown]
	v_alignbit_b32 v70, s0, v177, 16
	v_pk_fma_f16 v65, 0x3a95, v188, v65 op_sel:[0,0,1] op_sel_hi:[0,1,0] neg_lo:[0,1,0] neg_hi:[0,1,0]
	v_pk_fma_f16 v181, 0xbb7b, v189, v66 op_sel:[0,0,1] op_sel_hi:[0,1,0]
	v_pk_add_f16 v54, v61, v54
	v_bfi_b32 v61, 0xffff, v72, v187
	v_pk_add_f16 v166, v167, v166
	v_pk_add_f16 v60, v70, v165
	;; [unrolled: 1-line block ×3, first 2 shown]
	v_alignbit_b32 v69, s0, v181, 16
	v_pk_mul_f16 v63, 0x2fb7, v63 op_sel_hi:[0,1]
	v_pk_add_f16 v54, v61, v54
	v_bfi_b32 v61, 0xffff, v71, v190
	v_pk_add_f16 v70, v177, v166
	v_pk_fma_f16 v66, 0xbb7b, v189, v66 op_sel:[0,0,1] op_sel_hi:[0,1,0] neg_lo:[0,1,0] neg_hi:[0,1,0]
	v_pk_add_f16 v60, v69, v60
	v_pk_fma_f16 v69, 0x3bf1, v191, v63 op_sel:[0,0,1] op_sel_hi:[0,1,0]
	v_pk_add_f16 v54, v61, v54
	v_bfi_b32 v61, 0xffff, v68, v192
	v_pk_add_f16 v65, v66, v65
	v_pk_add_f16 v66, v181, v70
	v_alignbit_b32 v70, s0, v69, 16
	v_pk_fma_f16 v63, 0x3bf1, v191, v63 op_sel:[0,0,1] op_sel_hi:[0,1,0] neg_lo:[0,1,0] neg_hi:[0,1,0]
	v_fmac_f16_e64 v200, 0x3a95, v191
	v_fmac_f16_e64 v199, 0xb94e, v191
	v_pk_add_f16 v54, v61, v54
	v_bfi_b32 v61, 0xffff, v67, v194
	v_add_f16_e64 v182, v201, v182
	v_add_f16_e64 v185, v197, v185
	v_pk_add_f16 v60, v70, v60
	v_pk_add_f16 v63, v63, v65
	;; [unrolled: 1-line block ×3, first 2 shown]
	v_add_f16_e64 v176, v200, v176
	v_add_f16_e64 v174, v199, v174
	v_pk_add_f16 v54, v61, v54
	v_bfi_b32 v61, 0xffff, v64, v196
	v_pack_b32_f16 v68, v178, v179
	v_pack_b32_f16 v66, v184, v185
	;; [unrolled: 1-line block ×3, first 2 shown]
	v_alignbit_b32 v65, v65, v63, 16
	v_pack_b32_f16 v60, v60, v63
	v_pack_b32_f16 v63, v175, v176
	;; [unrolled: 1-line block ×3, first 2 shown]
	s_barrier_wait -1
	global_inv scope:SCOPE_SE
	v_pack_b32_f16 v69, v171, v172
	v_pack_b32_f16 v70, v173, v174
	v_pk_add_f16 v54, v61, v54
	ds_store_2addr_b32 v102, v62, v170 offset1:1
	ds_store_2addr_b32 v102, v68, v180 offset0:2 offset1:3
	ds_store_2addr_b32 v102, v67, v66 offset0:4 offset1:5
	;; [unrolled: 1-line block ×5, first 2 shown]
	ds_store_b32 v102, v54 offset:48
	s_and_saveexec_b32 s0, vcc_lo
	s_cbranch_execz .LBB0_13
; %bb.12:
	v_add_f16_e64 v166, v105, v160
	v_sub_f16_e32 v63, v52, v103
	v_add_f16_e64 v167, v104, v162
	v_sub_f16_e32 v60, v57, v24
	v_add_f16_e64 v168, v106, v164
	v_mul_f16_e64 v169, 0xbbc4, v166
	v_sub_f16_e32 v61, v58, v23
	v_mul_f16_e64 v171, 0x3b15, v167
	v_add_f16_e64 v170, v107, v159
	v_mul_f16_e64 v173, 0xb9fd, v168
	v_fma_f16 v64, 0x33a8, v63, v169
	v_sub_f16_e64 v174, v160, v105
	v_fma_f16 v65, 0xb770, v60, v171
	v_sub_f16_e32 v54, v56, v26
	v_mul_f16_e64 v175, 0x388b, v170
	v_add_f16_e64 v66, v157, v64
	v_add_f16_e32 v64, v103, v52
	v_fma_f16 v67, 0x394e, v61, v173
	v_mul_f16_e64 v176, 0xb3a8, v174
	v_sub_f16_e64 v177, v162, v104
	v_add_f16_e32 v66, v65, v66
	v_add_f16_e32 v65, v24, v57
	v_fma_f16 v68, 0xba95, v54, v175
	v_sub_f16_e64 v179, v164, v106
	v_mul_f16_e64 v178, 0x3770, v177
	v_add_f16_e32 v66, v67, v66
	v_fma_f16 v67, 0xbbc4, v64, v176
	v_sub_f16_e64 v182, v159, v107
	v_mul_f16_e64 v181, 0xb94e, v179
	v_fma_f16 v69, 0x3b15, v65, v178
	v_add_f16_e32 v68, v68, v66
	v_add_f16_e32 v67, v51, v67
	;; [unrolled: 1-line block ×3, first 2 shown]
	v_mul_f16_e64 v184, 0x3a95, v182
	v_sub_f16_e64 v186, v161, v108
	v_add_f16_e64 v172, v108, v161
	v_add_f16_e32 v70, v69, v67
	v_fma_f16 v72, 0xb9fd, v66, v181
	v_add_f16_e32 v69, v26, v56
	v_mul_f16_e64 v187, 0xbb7b, v186
	v_mul_f16_e64 v188, 0xb9fd, v166
	v_sub_f16_e32 v62, v55, v25
	v_add_f16_e32 v72, v72, v70
	v_fma_f16 v102, 0x388b, v69, v184
	v_add_f16_e32 v70, v25, v55
	v_mul_f16_e64 v180, 0xb5ac, v172
	v_add_f16_e64 v183, v158, v163
	v_fma_f16 v165, 0x394e, v63, v188
	v_add_f16_e32 v72, v102, v72
	v_fma_f16 v102, 0xb5ac, v70, v187
	v_mul_f16_e64 v189, 0x2fb7, v167
	v_fma_f16 v71, 0x3b7b, v62, v180
	v_mul_f16_e64 v185, 0x2fb7, v183
	v_sub_f16_e32 v67, v59, v53
	v_add_f16_e32 v72, v102, v72
	v_add_f16_e64 v102, v157, v165
	v_fma_f16 v165, 0xbbf1, v60, v189
	v_mul_f16_e64 v191, 0x388b, v168
	v_add_f16_e32 v68, v71, v68
	v_fma_f16 v71, 0xbbf1, v67, v185
	v_sub_f16_e64 v190, v163, v158
	v_mul_f16_e64 v193, 0xb94e, v174
	v_add_f16_e64 v102, v165, v102
	v_fma_f16 v165, 0x3a95, v61, v191
	v_mul_f16_e64 v194, 0xbbc4, v170
	v_add_f16_e32 v68, v71, v68
	v_add_f16_e32 v71, v53, v59
	v_mul_f16_e64 v192, 0x3bf1, v190
	v_fma_f16 v196, 0xb9fd, v64, v193
	v_mul_f16_e64 v197, 0x3bf1, v177
	v_add_f16_e64 v102, v165, v102
	v_fma_f16 v165, 0xb3a8, v54, v194
	v_mul_f16_e64 v198, 0x3b15, v172
	v_fma_f16 v195, 0x2fb7, v71, v192
	v_add_f16_e64 v196, v51, v196
	v_fma_f16 v199, 0x2fb7, v65, v197
	v_mul_f16_e64 v200, 0xba95, v179
	v_add_f16_e64 v102, v165, v102
	v_fma_f16 v165, 0xb770, v62, v198
	v_mul_f16_e64 v201, 0xb5ac, v183
	v_mul_f16_e64 v202, 0xb5ac, v166
	v_add_f16_e64 v72, v195, v72
	v_add_f16_e64 v195, v199, v196
	v_fma_f16 v196, 0x388b, v66, v200
	v_mul_f16_e64 v199, 0x33a8, v182
	v_add_f16_e64 v102, v165, v102
	v_fma_f16 v203, 0x3b7b, v67, v201
	v_fma_f16 v204, 0x3b7b, v63, v202
	v_mul_f16_e64 v205, 0xb9fd, v167
	v_add_f16_e64 v165, v196, v195
	v_fma_f16 v195, 0xbbc4, v69, v199
	v_mul_f16_e64 v196, 0x3770, v186
	v_add_f16_e64 v102, v203, v102
	v_add_f16_e64 v203, v157, v204
	v_fma_f16 v204, 0xb94e, v60, v205
	v_mul_f16_e64 v206, 0x3b15, v168
	v_add_f16_e64 v165, v195, v165
	v_fma_f16 v195, 0x3b15, v70, v196
	v_mul_f16_e64 v207, 0xbb7b, v174
	;; [unrolled: 3-line block ×3, first 2 shown]
	v_add_f16_e64 v165, v195, v165
	v_mul_f16_e64 v195, 0xbb7b, v190
	v_fma_f16 v210, 0xb5ac, v64, v207
	v_mul_f16_e64 v211, 0x394e, v177
	v_add_f16_e64 v203, v204, v203
	v_fma_f16 v204, 0x3bf1, v54, v208
	v_mul_f16_e64 v212, 0xbbc4, v172
	v_fma_f16 v209, 0xb5ac, v71, v195
	v_add_f16_e64 v210, v51, v210
	v_fma_f16 v213, 0xb9fd, v65, v211
	v_mul_f16_e64 v214, 0x3770, v179
	v_add_f16_e64 v203, v204, v203
	v_fma_f16 v204, 0xb3a8, v62, v212
	v_add_f16_e64 v165, v209, v165
	v_add_f16_e64 v209, v213, v210
	v_fma_f16 v210, 0x3b15, v66, v214
	v_mul_f16_e64 v213, 0xbbf1, v182
	v_add_f16_e64 v203, v204, v203
	v_mul_f16_e64 v204, 0x388b, v183
	v_mul_f16_e64 v215, 0x2fb7, v166
	v_add_f16_e64 v209, v210, v209
	v_fma_f16 v210, 0x2fb7, v69, v213
	v_mul_f16_e64 v216, 0x33a8, v186
	v_fma_f16 v217, 0xba95, v67, v204
	v_fma_f16 v218, 0x3bf1, v63, v215
	v_mul_f16_e64 v219, 0xbbc4, v167
	v_add_f16_e64 v209, v210, v209
	v_fma_f16 v210, 0xbbc4, v70, v216
	v_add_f16_e64 v203, v217, v203
	v_add_f16_e64 v217, v157, v218
	v_fma_f16 v218, 0x33a8, v60, v219
	v_mul_f16_e64 v220, 0xb5ac, v168
	v_mul_f16_e64 v221, 0xbbf1, v174
	v_add_f16_e64 v209, v210, v209
	v_mul_f16_e64 v210, 0x3a95, v190
	v_add_f16_e64 v217, v218, v217
	v_fma_f16 v218, 0xbb7b, v61, v220
	v_mul_f16_e64 v222, 0x3b15, v170
	v_fma_f16 v224, 0x2fb7, v64, v221
	v_mul_f16_e64 v225, 0xb3a8, v177
	v_fma_f16 v223, 0x388b, v71, v210
	v_add_f16_e64 v217, v218, v217
	v_fma_f16 v218, 0xb770, v54, v222
	v_mul_f16_e64 v226, 0x388b, v172
	v_add_f16_e64 v224, v51, v224
	v_fma_f16 v227, 0xbbc4, v65, v225
	v_mul_f16_e64 v228, 0x3b7b, v179
	v_add_f16_e64 v217, v218, v217
	v_fma_f16 v218, 0x3a95, v62, v226
	v_add_f16_e64 v209, v223, v209
	v_add_f16_e64 v223, v227, v224
	v_fma_f16 v224, 0xb5ac, v66, v228
	v_mul_f16_e64 v227, 0x3770, v182
	v_add_f16_e64 v217, v218, v217
	v_mul_f16_e64 v218, 0x388b, v166
	v_mul_f16_e64 v230, 0xba95, v186
	v_add_f16_e64 v223, v224, v223
	v_fma_f16 v224, 0x3b15, v69, v227
	v_mul_f16_e64 v229, 0xb9fd, v183
	v_fma_f16 v231, 0x3a95, v63, v218
	v_mul_f16_e64 v232, 0xb5ac, v167
	v_mul_f16_e64 v235, 0xbbc4, v168
	v_add_f16_e64 v223, v224, v223
	v_fma_f16 v224, 0x388b, v70, v230
	v_fma_f16 v233, 0x394e, v67, v229
	v_add_f16_e64 v231, v157, v231
	v_fma_f16 v234, 0x3b7b, v60, v232
	v_mul_f16_e64 v238, 0xbb7b, v177
	v_add_f16_e64 v223, v224, v223
	v_mul_f16_e64 v224, 0xba95, v174
	v_add_f16_e64 v217, v233, v217
	v_add_f16_e64 v231, v234, v231
	v_fma_f16 v233, 0x33a8, v61, v235
	v_mul_f16_e64 v234, 0xb9fd, v170
	v_fma_f16 v237, 0x388b, v64, v224
	v_mul_f16_e64 v239, 0x2fb7, v172
	v_fma_f16 v240, 0xb5ac, v65, v238
	v_add_f16_e64 v231, v233, v231
	v_fma_f16 v233, 0xb94e, v54, v234
	v_add_f16_e64 v237, v51, v237
	v_mul_f16_e64 v241, 0xb3a8, v179
	v_mul_f16_e64 v243, 0x394e, v182
	;; [unrolled: 1-line block ×3, first 2 shown]
	v_add_f16_e64 v231, v233, v231
	v_fma_f16 v233, 0xbbf1, v62, v239
	v_add_f16_e64 v237, v240, v237
	v_fma_f16 v240, 0xbbc4, v66, v241
	v_fma_f16 v244, 0x3770, v63, v166
	v_mul_f16_e64 v167, 0x388b, v167
	v_add_f16_e64 v231, v233, v231
	v_add_f16_e32 v52, v52, v51
	v_add_f16_e64 v233, v240, v237
	v_fma_f16 v237, 0xb9fd, v69, v243
	v_mul_f16_e64 v240, 0x3bf1, v186
	v_mul_f16_e64 v245, 0x3770, v190
	v_add_f16_e64 v244, v157, v244
	v_fma_f16 v246, 0x3a95, v60, v167
	v_add_f16_e64 v233, v237, v233
	v_fma_f16 v237, 0x2fb7, v70, v240
	v_mul_f16_e64 v168, 0x2fb7, v168
	v_add_f16_e32 v52, v57, v52
	v_add_f16_e64 v57, v160, v157
	v_add_f16_e64 v244, v246, v244
	;; [unrolled: 1-line block ×3, first 2 shown]
	v_fma_f16 v237, 0x3b15, v71, v245
	v_fma_f16 v246, 0x3bf1, v61, v168
	v_mul_f16_e64 v170, 0xb5ac, v170
	v_add_f16_e32 v52, v58, v52
	v_add_f16_e64 v57, v162, v57
	v_add_f16_e64 v233, v237, v233
	;; [unrolled: 1-line block ×3, first 2 shown]
	v_fma_f16 v160, 0x3b7b, v54, v170
	v_mul_f16_e64 v172, 0xb9fd, v172
	v_mul_f16_e64 v174, 0xb770, v174
	v_add_f16_e32 v52, v56, v52
	v_add_f16_e64 v56, v164, v57
	v_add_f16_e64 v58, v160, v237
	v_fma_f16 v160, 0x394e, v62, v172
	v_fma_f16 v162, 0x3b15, v64, v174
	v_mul_f16_e64 v57, 0xba95, v177
	v_add_f16_e32 v52, v55, v52
	v_add_f16_e64 v55, v159, v56
	v_add_f16_e64 v58, v160, v58
	v_add_f16_e64 v160, v51, v162
	v_fmamk_f16 v56, v65, 0x388b, v57
	v_mul_f16_e64 v159, 0xbbf1, v179
	v_mul_f16_e64 v162, 0xbbc4, v183
	v_add_f16_e32 v52, v59, v52
	v_add_f16_e64 v55, v161, v55
	v_add_f16_e64 v56, v56, v160
	v_fma_f16 v59, 0x2fb7, v66, v159
	v_mul_f16_e64 v160, 0xbb7b, v182
	v_add_f16_e32 v52, v53, v52
	v_add_f16_e64 v53, v163, v55
	v_fma_f16 v55, 0x33a8, v67, v162
	v_add_f16_e32 v56, v59, v56
	v_fma_f16 v59, 0xb5ac, v69, v160
	v_add_f16_e32 v25, v25, v52
	v_add_f16_e64 v52, v158, v53
	v_add_f16_e32 v53, v55, v58
	v_mul_f16_e64 v55, 0xb94e, v186
	v_add_f16_e32 v56, v59, v56
	v_add_f16_e32 v25, v26, v25
	;; [unrolled: 1-line block ×3, first 2 shown]
	v_fmac_f16_e64 v169, 0xb3a8, v63
	v_fmamk_f16 v52, v70, 0xb9fd, v55
	v_mul_f16_e64 v58, 0xb3a8, v190
	v_add_f16_e32 v23, v23, v25
	v_add_f16_e32 v25, v107, v26
	v_add_f16_e64 v26, v157, v169
	v_fmac_f16_e64 v171, 0x3770, v60
	v_add_f16_e32 v52, v52, v56
	v_fmamk_f16 v56, v71, 0xbbc4, v58
	v_add_f16_e32 v23, v24, v23
	v_add_f16_e32 v24, v106, v25
	v_add_f16_e64 v25, v171, v26
	v_fmac_f16_e64 v202, 0xbb7b, v63
	v_add_f16_e32 v26, v56, v52
	v_fma_f16 v52, v64, 0xbbc4, -v176
	v_fma_f16 v56, v65, 0x3b15, -v178
	v_add_f16_e32 v23, v103, v23
	v_fma_f16 v103, v64, 0xb9fd, -v193
	v_add_f16_e32 v24, v104, v24
	v_add_f16_e32 v52, v51, v52
	v_fma_f16 v104, v65, 0x2fb7, -v197
	v_fmac_f16_e64 v205, 0x394e, v60
	v_add_f16_e32 v103, v51, v103
	v_add_f16_e32 v24, v105, v24
	;; [unrolled: 1-line block ×3, first 2 shown]
	v_fma_f16 v56, v66, 0xb9fd, -v181
	v_add_f16_e64 v105, v157, v202
	v_add_f16_e32 v103, v104, v103
	v_fma_f16 v104, v66, 0x388b, -v200
	v_fmac_f16_e64 v215, 0xbbf1, v63
	v_add_f16_e32 v52, v56, v52
	v_fma_f16 v56, v69, 0x388b, -v184
	v_fma_f16 v106, v71, 0xb5ac, -v195
	v_fmac_f16_e64 v219, 0xb3a8, v60
	v_add_f16_e64 v107, v157, v215
	v_fma_f16 v158, v71, 0x388b, -v210
	v_add_f16_e32 v52, v56, v52
	v_fma_f16 v56, v70, 0xb5ac, -v187
	v_fmac_f16_e64 v188, 0xb94e, v63
	v_fmac_f16_e64 v218, 0xba95, v63
	;; [unrolled: 1-line block ×3, first 2 shown]
	v_fma_f16 v63, v64, 0x3b15, -v174
	v_add_f16_e32 v52, v56, v52
	v_fma_f16 v56, v71, 0x2fb7, -v192
	v_add_f16_e64 v59, v157, v188
	v_fmac_f16_e64 v189, 0x3bf1, v60
	v_fma_f16 v108, v65, 0xbbc4, -v225
	v_fmac_f16_e64 v232, 0xbb7b, v60
	v_add_f16_e32 v52, v56, v52
	v_add_f16_e32 v56, v104, v103
	v_fma_f16 v103, v69, 0xbbc4, -v199
	v_add_f16_e64 v104, v205, v105
	v_fma_f16 v105, v64, 0xb5ac, -v207
	v_fmac_f16_e64 v167, 0xba95, v60
	v_fma_f16 v57, v65, 0x388b, -v57
	v_add_f16_e32 v56, v103, v56
	v_fma_f16 v103, v70, 0x3b15, -v196
	v_mul_f16_e64 v236, 0xb94e, v190
	v_fmac_f16_e64 v173, 0xb94e, v61
	v_add_f16_e64 v59, v189, v59
	v_fmac_f16_e64 v191, 0xba95, v61
	v_add_f16_e32 v56, v103, v56
	v_add_f16_e32 v103, v51, v105
	v_fma_f16 v105, v65, 0xb9fd, -v211
	v_fmac_f16_e64 v206, 0x3770, v61
	v_fmac_f16_e64 v220, 0x3b7b, v61
	v_add_f16_e32 v56, v106, v56
	v_add_f16_e64 v106, v219, v107
	v_add_f16_e32 v103, v105, v103
	v_fma_f16 v105, v66, 0x3b15, -v214
	v_fma_f16 v107, v70, 0xbbc4, -v216
	v_fmac_f16_e64 v235, 0xb3a8, v61
	v_fmac_f16_e64 v168, 0xbbf1, v61
	v_fma_f16 v242, 0xb9fd, v71, v236
	v_add_f16_e32 v103, v105, v103
	v_fma_f16 v105, v69, 0x2fb7, -v213
	v_add_f16_e64 v25, v173, v25
	v_fmac_f16_e64 v175, 0x3a95, v54
	v_add_f16_e64 v59, v191, v59
	v_fmac_f16_e64 v194, 0x33a8, v54
	v_add_f16_e32 v103, v105, v103
	v_fma_f16 v105, v64, 0x2fb7, -v221
	v_add_f16_e64 v104, v206, v104
	v_fmac_f16_e64 v208, 0xbbf1, v54
	v_add_f16_e64 v106, v220, v106
	v_add_f16_e32 v103, v107, v103
	v_add_f16_e32 v105, v51, v105
	v_add_f16_e64 v107, v157, v218
	v_add_f16_e64 v157, v157, v166
	v_fmac_f16_e64 v222, 0x3770, v54
	v_add_f16_e64 v103, v158, v103
	v_fma_f16 v158, v64, 0x388b, -v224
	v_add_f16_e32 v105, v108, v105
	v_fma_f16 v108, v66, 0xb5ac, -v228
	v_add_f16_e64 v107, v232, v107
	v_fmac_f16_e64 v234, 0x394e, v54
	v_add_f16_e64 v64, v51, v158
	v_fma_f16 v158, v65, 0xb5ac, -v238
	v_add_f16_e32 v51, v51, v63
	v_fma_f16 v63, v66, 0xbbc4, -v241
	v_add_f16_e32 v105, v108, v105
	v_fma_f16 v108, v69, 0x3b15, -v227
	v_add_f16_e64 v60, v158, v64
	v_add_f16_e64 v64, v167, v157
	v_add_f16_e32 v51, v57, v51
	v_fma_f16 v57, v66, 0x2fb7, -v159
	v_add_f16_e64 v107, v235, v107
	v_add_f16_e32 v60, v63, v60
	v_fma_f16 v61, v69, 0xb9fd, -v243
	v_add_f16_e64 v63, v168, v64
	v_fmac_f16_e64 v170, 0xbb7b, v54
	v_add_f16_e32 v51, v57, v51
	v_fma_f16 v54, v69, 0xb5ac, -v160
	v_add_f16_e64 v223, v242, v223
	v_mul_f16_e64 v242, 0x3b15, v183
	v_add_f16_e64 v25, v175, v25
	v_fmac_f16_e64 v180, 0xbb7b, v62
	v_add_f16_e64 v59, v194, v59
	v_fmac_f16_e64 v198, 0x3770, v62
	v_add_f16_e64 v104, v208, v104
	v_fmac_f16_e64 v212, 0x33a8, v62
	v_add_f16_e64 v106, v222, v106
	v_fmac_f16_e64 v226, 0xba95, v62
	v_add_f16_e32 v105, v108, v105
	v_fma_f16 v108, v70, 0x388b, -v230
	v_add_f16_e64 v107, v234, v107
	v_fmac_f16_e64 v239, 0x3bf1, v62
	v_add_f16_e32 v57, v61, v60
	v_fma_f16 v60, v70, 0x2fb7, -v240
	v_add_f16_e64 v61, v170, v63
	v_fmac_f16_e64 v172, 0xb94e, v62
	v_add_f16_e32 v51, v54, v51
	v_fma_f16 v54, v70, 0xb9fd, -v55
	v_fma_f16 v247, 0xb770, v67, v242
	v_add_f16_e64 v25, v180, v25
	v_fmac_f16_e64 v185, 0x3bf1, v67
	v_add_f16_e64 v59, v198, v59
	v_fmac_f16_e64 v201, 0xbb7b, v67
	;; [unrolled: 2-line block ×4, first 2 shown]
	v_add_f16_e32 v105, v108, v105
	v_fma_f16 v108, v71, 0xb9fd, -v236
	v_add_f16_e64 v107, v239, v107
	v_fmac_f16_e64 v242, 0x3770, v67
	v_add_f16_e32 v55, v60, v57
	v_fma_f16 v57, v71, 0x3b15, -v245
	v_add_f16_e64 v60, v172, v61
	v_fmac_f16_e64 v162, 0xb3a8, v67
	v_add_f16_e32 v51, v54, v51
	v_fma_f16 v54, v71, 0xbbc4, -v58
	v_add_f16_e64 v231, v247, v231
	v_add_f16_e64 v25, v185, v25
	v_add_f16_e64 v59, v201, v59
	v_add_f16_e64 v104, v204, v104
	v_add_f16_e64 v106, v229, v106
	v_add_f16_e32 v58, v108, v105
	v_add_f16_e64 v61, v242, v107
	v_add_f16_e32 v55, v57, v55
	v_add_f16_e64 v57, v162, v60
	v_add_f16_e32 v51, v54, v51
	v_lshlrev_b32_e32 v54, 2, v101
	v_pack_b32_f16 v26, v26, v53
	v_pack_b32_f16 v23, v23, v24
	;; [unrolled: 1-line block ×13, first 2 shown]
	ds_store_2addr_b32 v54, v23, v26 offset1:1
	ds_store_2addr_b32 v54, v53, v24 offset0:2 offset1:3
	ds_store_2addr_b32 v54, v62, v60 offset0:4 offset1:5
	;; [unrolled: 1-line block ×5, first 2 shown]
	ds_store_b32 v54, v51 offset:48
.LBB0_13:
	s_wait_alu 0xfffe
	s_or_b32 exec_lo, exec_lo, s0
	v_add_nc_u32_e32 v54, 0x200, v73
	global_wb scope:SCOPE_SE
	s_wait_dscnt 0x0
	s_barrier_signal -1
	s_barrier_wait -1
	global_inv scope:SCOPE_SE
	v_add_nc_u32_e32 v51, 0x800, v73
	v_add_nc_u32_e32 v24, 0xa00, v73
	ds_load_2addr_b32 v[58:59], v54 offset0:54 offset1:145
	v_add_nc_u32_e32 v53, 0x1000, v73
	v_add_nc_u32_e32 v26, 0x1200, v73
	ds_load_2addr_b32 v[60:61], v51 offset0:34 offset1:125
	ds_load_2addr_b32 v[62:63], v24 offset0:88 offset1:179
	v_add_nc_u32_e32 v23, 0x1800, v73
	ds_load_2addr_b32 v[64:65], v53 offset0:68 offset1:159
	ds_load_2addr_b32 v[66:67], v26 offset0:122 offset1:213
	v_add_nc_u32_e32 v52, 0x400, v73
	v_add_nc_u32_e32 v55, 0xc00, v73
	ds_load_2addr_b32 v[68:69], v23 offset0:102 offset1:193
	v_add_nc_u32_e32 v25, 0x1600, v73
	ds_load_2addr_b32 v[56:57], v73 offset1:91
	ds_load_2addr_b32 v[70:71], v52 offset0:108 offset1:199
	ds_load_2addr_b32 v[101:102], v55 offset0:142 offset1:233
	;; [unrolled: 1-line block ×3, first 2 shown]
	ds_load_b32 v72, v73 offset:7280
	global_wb scope:SCOPE_SE
	s_wait_dscnt 0x0
	s_barrier_signal -1
	s_barrier_wait -1
	global_inv scope:SCOPE_SE
	s_mov_b32 s8, 0xa36ec936
	v_lshrrev_b32_e32 v106, 16, v59
	v_lshrrev_b32_e32 v167, 16, v58
	s_mov_b32 s9, 0x3f4125a4
	v_lshrrev_b32_e32 v107, 16, v60
	v_lshrrev_b32_e32 v108, 16, v63
	v_mul_f16_e64 v170, v127, v106
	v_lshrrev_b32_e32 v157, 16, v64
	v_lshrrev_b32_e32 v158, 16, v67
	;; [unrolled: 1-line block ×3, first 2 shown]
	v_mul_f16_e64 v175, v125, v108
	v_lshrrev_b32_e32 v159, 16, v68
	v_fmac_f16_e64 v170, v8, v59
	v_mul_f16_e32 v59, v127, v59
	v_mul_f16_e32 v127, v126, v107
	;; [unrolled: 1-line block ×3, first 2 shown]
	v_lshrrev_b32_e32 v161, 16, v70
	v_mul_f16_e32 v125, v125, v63
	v_fma_f16 v8, v8, v106, -v59
	v_fmac_f16_e32 v127, v9, v60
	v_fma_f16 v9, v9, v107, -v126
	v_fmac_f16_e64 v175, v10, v63
	v_mul_f16_e64 v59, v124, v157
	v_mul_f16_e32 v60, v124, v64
	v_mul_f16_e64 v63, v123, v158
	v_mul_f16_e32 v106, v123, v67
	v_mul_f16_e64 v107, v122, v159
	v_lshrrev_b32_e32 v163, 16, v101
	v_lshrrev_b32_e32 v164, 16, v65
	;; [unrolled: 1-line block ×3, first 2 shown]
	v_fmac_f16_e32 v59, v11, v64
	v_fma_f16 v11, v11, v157, -v60
	v_fmac_f16_e32 v63, v31, v67
	v_fma_f16 v31, v31, v158, -v106
	v_fmac_f16_e32 v107, v32, v68
	v_mul_f16_e32 v60, v122, v68
	v_mul_f16_e64 v64, v121, v161
	v_mul_f16_e32 v67, v121, v70
	v_mul_f16_e64 v68, v120, v162
	v_mul_f16_e32 v106, v120, v61
	v_lshrrev_b32_e32 v166, 16, v69
	v_lshrrev_b32_e32 v168, 16, v71
	v_fma_f16 v32, v32, v159, -v60
	v_fmac_f16_e32 v64, v4, v70
	v_fma_f16 v4, v4, v161, -v67
	v_fmac_f16_e32 v68, v5, v61
	v_fma_f16 v5, v5, v162, -v106
	v_mul_f16_e64 v60, v118, v163
	v_mul_f16_e32 v61, v118, v101
	v_mul_f16_e64 v67, v116, v164
	v_mul_f16_e32 v70, v116, v65
	v_mul_f16_e64 v106, v114, v165
	v_lshrrev_b32_e32 v169, 16, v62
	v_lshrrev_b32_e32 v171, 16, v102
	;; [unrolled: 1-line block ×3, first 2 shown]
	v_fmac_f16_e32 v60, v6, v101
	v_fma_f16 v6, v6, v163, -v61
	v_fmac_f16_e32 v67, v7, v65
	v_fma_f16 v7, v7, v164, -v70
	v_fmac_f16_e32 v106, v29, v103
	v_mul_f16_e32 v61, v114, v103
	v_mul_f16_e64 v65, v112, v166
	v_mul_f16_e32 v70, v112, v69
	v_mul_f16_e64 v101, v119, v168
	v_mul_f16_e32 v103, v119, v71
	v_lshrrev_b32_e32 v173, 16, v104
	v_lshrrev_b32_e32 v174, 16, v72
	v_fma_f16 v29, v29, v165, -v61
	v_fmac_f16_e32 v65, v30, v69
	v_fma_f16 v30, v30, v166, -v70
	v_fmac_f16_e32 v101, v0, v71
	v_fma_f16 v0, v0, v168, -v103
	v_mul_f16_e64 v61, v117, v169
	v_mul_f16_e32 v69, v117, v62
	v_mul_f16_e64 v70, v115, v171
	v_mul_f16_e32 v71, v115, v102
	v_mul_f16_e64 v103, v113, v172
	v_fmac_f16_e32 v61, v1, v62
	v_fma_f16 v1, v1, v169, -v69
	v_fmac_f16_e32 v70, v2, v102
	v_fma_f16 v2, v2, v171, -v71
	v_fmac_f16_e32 v103, v3, v66
	v_mul_f16_e32 v62, v113, v66
	v_mul_f16_e64 v66, v111, v173
	v_mul_f16_e32 v69, v111, v104
	v_mul_f16_e64 v71, v110, v174
	v_mul_f16_e32 v102, v110, v72
	v_fma_f16 v10, v10, v108, -v125
	v_fma_f16 v3, v3, v172, -v62
	v_fmac_f16_e32 v66, v27, v104
	v_fma_f16 v27, v27, v173, -v69
	v_fmac_f16_e32 v71, v28, v72
	v_fma_f16 v28, v28, v174, -v102
	v_add_f16_e64 v62, v170, v107
	v_add_f16_e32 v69, v8, v32
	v_sub_f16_e32 v8, v8, v32
	v_add_f16_e32 v32, v127, v63
	v_add_f16_e32 v102, v9, v31
	v_sub_f16_e64 v72, v170, v107
	v_sub_f16_e32 v63, v127, v63
	v_sub_f16_e32 v9, v9, v31
	v_add_f16_e64 v31, v175, v59
	v_add_f16_e32 v104, v10, v11
	v_sub_f16_e64 v59, v59, v175
	v_sub_f16_e32 v10, v11, v10
	v_add_f16_e32 v11, v32, v62
	v_add_f16_e32 v107, v102, v69
	v_lshrrev_b32_e32 v105, 16, v56
	v_sub_f16_e32 v108, v32, v62
	v_sub_f16_e32 v110, v102, v69
	;; [unrolled: 1-line block ×6, first 2 shown]
	v_add_f16_e32 v111, v59, v63
	v_add_f16_e32 v112, v10, v9
	v_sub_f16_e32 v113, v59, v63
	v_sub_f16_e32 v114, v10, v9
	;; [unrolled: 1-line block ×3, first 2 shown]
	v_add_f16_e32 v11, v31, v11
	v_add_f16_e32 v31, v104, v107
	v_sub_f16_e32 v9, v9, v8
	v_sub_f16_e32 v59, v72, v59
	;; [unrolled: 1-line block ×3, first 2 shown]
	v_add_f16_e32 v72, v111, v72
	v_add_f16_e32 v8, v112, v8
	v_add_f16_e32 v56, v56, v11
	v_add_f16_e32 v104, v105, v31
	v_mul_f16_e32 v62, 0x3a52, v62
	v_mul_f16_e32 v69, 0x3a52, v69
	;; [unrolled: 1-line block ×8, first 2 shown]
	v_fmamk_f16 v11, v11, 0xbcab, v56
	v_fmamk_f16 v31, v31, 0xbcab, v104
	;; [unrolled: 1-line block ×4, first 2 shown]
	v_fma_f16 v105, v108, 0x39e0, -v105
	v_fma_f16 v107, v110, 0x39e0, -v107
	;; [unrolled: 1-line block ×4, first 2 shown]
	v_fmamk_f16 v108, v59, 0xb574, v111
	v_fmamk_f16 v110, v10, 0xb574, v112
	v_fma_f16 v59, v59, 0x3574, -v113
	v_fma_f16 v10, v10, 0x3574, -v114
	;; [unrolled: 1-line block ×4, first 2 shown]
	v_add_f16_e32 v32, v32, v11
	v_add_f16_e32 v102, v102, v31
	;; [unrolled: 1-line block ×6, first 2 shown]
	v_fmac_f16_e32 v108, 0xb70e, v72
	v_fmac_f16_e32 v110, 0xb70e, v8
	v_fmac_f16_e32 v10, 0xb70e, v8
	v_fmac_f16_e32 v59, 0xb70e, v72
	v_fmac_f16_e32 v63, 0xb70e, v72
	v_fmac_f16_e32 v9, 0xb70e, v8
	v_add_f16_e32 v8, v110, v32
	v_sub_f16_e32 v62, v102, v108
	v_add_f16_e32 v69, v10, v11
	v_sub_f16_e32 v72, v31, v59
	v_sub_f16_e32 v10, v11, v10
	v_add_f16_e32 v11, v59, v31
	v_sub_f16_e32 v31, v32, v110
	v_add_f16_e32 v32, v108, v102
	v_add_f16_e32 v59, v64, v65
	;; [unrolled: 1-line block ×3, first 2 shown]
	v_sub_f16_e32 v64, v64, v65
	v_sub_f16_e32 v4, v4, v30
	v_add_f16_e32 v30, v68, v106
	v_add_f16_e32 v65, v5, v29
	v_sub_f16_e32 v111, v105, v9
	v_add_f16_e32 v9, v9, v105
	v_sub_f16_e32 v68, v68, v106
	v_sub_f16_e32 v5, v5, v29
	v_add_f16_e32 v29, v60, v67
	v_add_f16_e32 v105, v6, v7
	v_sub_f16_e32 v60, v67, v60
	v_sub_f16_e32 v6, v7, v6
	v_add_f16_e32 v7, v30, v59
	v_add_f16_e32 v67, v65, v102
	v_lshrrev_b32_e32 v160, 16, v57
	v_add_f16_e32 v112, v63, v107
	v_sub_f16_e32 v63, v107, v63
	v_sub_f16_e32 v106, v30, v59
	;; [unrolled: 1-line block ×7, first 2 shown]
	v_add_f16_e32 v108, v60, v68
	v_add_f16_e32 v110, v6, v5
	v_sub_f16_e32 v113, v60, v68
	v_sub_f16_e32 v114, v6, v5
	;; [unrolled: 1-line block ×3, first 2 shown]
	v_add_f16_e32 v7, v29, v7
	v_add_f16_e32 v29, v105, v67
	v_sub_f16_e32 v5, v5, v4
	v_sub_f16_e32 v60, v64, v60
	;; [unrolled: 1-line block ×3, first 2 shown]
	v_add_f16_e32 v64, v108, v64
	v_add_f16_e32 v4, v110, v4
	;; [unrolled: 1-line block ×3, first 2 shown]
	v_add_f16_e64 v67, v160, v29
	v_mul_f16_e32 v59, 0x3a52, v59
	v_mul_f16_e32 v102, 0x3a52, v102
	;; [unrolled: 1-line block ×8, first 2 shown]
	v_fmamk_f16 v7, v7, 0xbcab, v57
	v_fmamk_f16 v29, v29, 0xbcab, v67
	;; [unrolled: 1-line block ×4, first 2 shown]
	v_fma_f16 v105, v106, 0x39e0, -v105
	v_fma_f16 v108, v107, 0x39e0, -v108
	;; [unrolled: 1-line block ×4, first 2 shown]
	v_fmamk_f16 v106, v60, 0xb574, v110
	v_fmamk_f16 v107, v6, 0xb574, v113
	v_fma_f16 v60, v60, 0x3574, -v114
	v_fma_f16 v6, v6, 0x3574, -v115
	;; [unrolled: 1-line block ×4, first 2 shown]
	v_add_f16_e32 v30, v30, v7
	v_add_f16_e32 v65, v65, v29
	;; [unrolled: 1-line block ×6, first 2 shown]
	v_fmac_f16_e32 v106, 0xb70e, v64
	v_fmac_f16_e32 v107, 0xb70e, v4
	;; [unrolled: 1-line block ×6, first 2 shown]
	v_add_f16_e32 v4, v107, v30
	v_sub_f16_e32 v59, v65, v106
	v_add_f16_e32 v64, v6, v7
	v_sub_f16_e32 v102, v29, v60
	v_sub_f16_e32 v6, v7, v6
	v_add_f16_e32 v7, v60, v29
	v_sub_f16_e32 v29, v30, v107
	v_add_f16_e32 v30, v106, v65
	v_add_f16_e32 v60, v101, v71
	;; [unrolled: 1-line block ×3, first 2 shown]
	v_sub_f16_e32 v71, v101, v71
	v_sub_f16_e32 v0, v0, v28
	v_add_f16_e32 v28, v61, v66
	v_add_f16_e32 v101, v1, v27
	v_sub_f16_e32 v61, v61, v66
	v_sub_f16_e32 v1, v1, v27
	v_add_f16_e32 v27, v70, v103
	v_add_f16_e32 v66, v2, v3
	v_sub_f16_e32 v70, v103, v70
	v_sub_f16_e32 v2, v3, v2
	v_add_f16_e32 v3, v28, v60
	v_add_f16_e32 v103, v101, v65
	v_sub_f16_e32 v110, v105, v5
	v_add_f16_e32 v113, v68, v108
	v_add_f16_e32 v5, v5, v105
	v_sub_f16_e32 v68, v108, v68
	v_sub_f16_e32 v105, v28, v60
	v_sub_f16_e32 v106, v101, v65
	v_sub_f16_e32 v60, v60, v27
	v_sub_f16_e32 v65, v65, v66
	v_sub_f16_e32 v28, v27, v28
	v_sub_f16_e32 v101, v66, v101
	v_add_f16_e32 v107, v70, v61
	v_add_f16_e32 v108, v2, v1
	v_sub_f16_e32 v114, v70, v61
	v_sub_f16_e32 v115, v2, v1
	v_add_f16_e32 v3, v27, v3
	v_add_f16_e32 v27, v66, v103
	v_sub_f16_e32 v61, v61, v71
	v_sub_f16_e32 v1, v1, v0
	v_sub_f16_e32 v70, v71, v70
	v_sub_f16_e32 v2, v0, v2
	v_add_f16_e32 v66, v107, v71
	v_add_f16_e32 v0, v108, v0
	;; [unrolled: 1-line block ×3, first 2 shown]
	v_add_f16_e64 v71, v167, v27
	v_mul_f16_e32 v60, 0x3a52, v60
	v_mul_f16_e32 v65, 0x3a52, v65
	v_mul_f16_e32 v103, 0x2b26, v28
	v_mul_f16_e32 v107, 0x2b26, v101
	v_mul_f16_e32 v108, 0x3846, v114
	v_mul_f16_e32 v114, 0x3846, v115
	v_mul_f16_e32 v115, 0xbb00, v61
	v_mul_f16_e32 v116, 0xbb00, v1
	v_fmamk_f16 v3, v3, 0xbcab, v58
	v_fmamk_f16 v27, v27, 0xbcab, v71
	;; [unrolled: 1-line block ×4, first 2 shown]
	v_fma_f16 v103, v105, 0x39e0, -v103
	v_fma_f16 v107, v106, 0x39e0, -v107
	;; [unrolled: 1-line block ×4, first 2 shown]
	v_fmamk_f16 v105, v70, 0xb574, v108
	v_fmamk_f16 v106, v2, 0xb574, v114
	v_fma_f16 v61, v61, 0xbb00, -v108
	v_fma_f16 v1, v1, 0xbb00, -v114
	;; [unrolled: 1-line block ×4, first 2 shown]
	v_pack_b32_f16 v56, v56, v104
	v_pack_b32_f16 v8, v8, v62
	v_add_f16_e32 v28, v28, v3
	v_add_f16_e32 v101, v101, v27
	v_fmac_f16_e32 v105, 0xb70e, v66
	v_fmac_f16_e32 v106, 0xb70e, v0
	v_pack_b32_f16 v62, v69, v72
	v_pack_b32_f16 v69, v111, v112
	v_add_f16_e32 v103, v103, v3
	v_add_f16_e32 v107, v107, v27
	;; [unrolled: 1-line block ×4, first 2 shown]
	v_fmac_f16_e32 v61, 0xb70e, v66
	v_fmac_f16_e32 v2, 0xb70e, v0
	;; [unrolled: 1-line block ×4, first 2 shown]
	ds_store_2addr_b32 v109, v56, v8 offset1:13
	ds_store_2addr_b32 v109, v62, v69 offset0:26 offset1:39
	v_pack_b32_f16 v8, v9, v63
	v_pack_b32_f16 v9, v10, v11
	v_add_f16_e32 v0, v106, v28
	v_sub_f16_e32 v60, v101, v105
	v_pack_b32_f16 v10, v31, v32
	v_add_f16_e32 v65, v2, v3
	v_sub_f16_e32 v66, v27, v70
	v_sub_f16_e32 v108, v103, v1
	v_add_f16_e32 v114, v61, v107
	v_pack_b32_f16 v11, v57, v67
	v_pack_b32_f16 v4, v4, v59
	v_add_f16_e32 v1, v1, v103
	v_sub_f16_e32 v61, v107, v61
	v_sub_f16_e32 v2, v3, v2
	v_add_f16_e32 v3, v70, v27
	v_pack_b32_f16 v31, v64, v102
	v_pack_b32_f16 v32, v110, v113
	v_sub_f16_e32 v27, v28, v106
	v_add_f16_e32 v28, v105, v101
	v_pack_b32_f16 v5, v5, v68
	v_pack_b32_f16 v6, v6, v7
	ds_store_2addr_b32 v109, v8, v9 offset0:52 offset1:65
	ds_store_b32 v109, v10 offset:312
	ds_store_2addr_b32 v139, v11, v4 offset1:13
	ds_store_2addr_b32 v139, v31, v32 offset0:26 offset1:39
	ds_store_2addr_b32 v139, v5, v6 offset0:52 offset1:65
	v_pack_b32_f16 v4, v29, v30
	v_pack_b32_f16 v5, v58, v71
	;; [unrolled: 1-line block ×8, first 2 shown]
	ds_store_b32 v139, v4 offset:312
	ds_store_2addr_b32 v141, v5, v0 offset1:13
	ds_store_2addr_b32 v141, v6, v7 offset0:26 offset1:39
	ds_store_2addr_b32 v141, v1, v2 offset0:52 offset1:65
	ds_store_b32 v141, v3 offset:312
	global_wb scope:SCOPE_SE
	s_wait_dscnt 0x0
	s_barrier_signal -1
	s_barrier_wait -1
	global_inv scope:SCOPE_SE
	ds_load_2addr_b32 v[0:1], v73 offset1:91
	ds_load_2addr_b32 v[2:3], v54 offset0:54 offset1:145
	ds_load_2addr_b32 v[4:5], v51 offset0:34 offset1:125
	;; [unrolled: 1-line block ×9, first 2 shown]
	ds_load_b32 v60, v73 offset:7280
	global_wb scope:SCOPE_SE
	s_wait_dscnt 0x0
	s_barrier_signal -1
	s_barrier_wait -1
	global_inv scope:SCOPE_SE
	v_lshrrev_b32_e32 v58, 16, v0
	v_lshrrev_b32_e32 v59, 16, v3
	;; [unrolled: 1-line block ×6, first 2 shown]
	v_mul_f16_e64 v104, v140, v59
	v_lshrrev_b32_e32 v65, 16, v27
	v_mul_f16_e64 v109, v138, v61
	v_mul_f16_e64 v110, v138, v4
	;; [unrolled: 1-line block ×3, first 2 shown]
	v_fmac_f16_e32 v104, v16, v3
	v_mul_f16_e64 v3, v140, v3
	v_mul_f16_e64 v112, v137, v7
	v_lshrrev_b32_e32 v67, 16, v29
	v_lshrrev_b32_e32 v68, 16, v5
	v_fmac_f16_e32 v109, v17, v4
	v_fma_f16 v3, v16, v59, -v3
	v_fma_f16 v4, v17, v61, -v110
	v_fmac_f16_e32 v111, v18, v7
	v_fma_f16 v7, v18, v62, -v112
	v_mul_f16_e64 v59, v136, v63
	v_mul_f16_e64 v61, v136, v8
	;; [unrolled: 1-line block ×5, first 2 shown]
	v_lshrrev_b32_e32 v69, 16, v31
	v_lshrrev_b32_e32 v70, 16, v9
	;; [unrolled: 1-line block ×3, first 2 shown]
	v_fmac_f16_e32 v59, v19, v8
	v_fma_f16 v8, v19, v63, -v61
	v_fmac_f16_e32 v62, v35, v11
	v_fma_f16 v11, v35, v64, -v110
	v_fmac_f16_e32 v112, v36, v27
	v_mul_f16_e64 v27, v134, v27
	v_mul_f16_e64 v61, v140, v67
	;; [unrolled: 1-line block ×5, first 2 shown]
	v_lshrrev_b32_e32 v72, 16, v28
	v_lshrrev_b32_e32 v102, 16, v30
	v_fma_f16 v27, v36, v65, -v27
	v_fmac_f16_e32 v61, v16, v29
	v_fma_f16 v16, v16, v67, -v63
	v_fmac_f16_e32 v64, v17, v5
	v_fma_f16 v5, v17, v68, -v110
	v_mul_f16_e64 v17, v137, v69
	v_mul_f16_e64 v29, v137, v31
	;; [unrolled: 1-line block ×5, first 2 shown]
	v_lshrrev_b32_e32 v103, 16, v6
	v_lshrrev_b32_e32 v105, 16, v32
	;; [unrolled: 1-line block ×3, first 2 shown]
	v_fmac_f16_e32 v17, v18, v31
	v_fma_f16 v18, v18, v69, -v29
	v_fmac_f16_e32 v63, v19, v9
	v_fma_f16 v9, v19, v70, -v65
	v_fmac_f16_e32 v67, v35, v56
	v_mul_f16_e64 v19, v135, v56
	v_mul_f16_e64 v29, v134, v72
	;; [unrolled: 1-line block ×5, first 2 shown]
	v_lshrrev_b32_e32 v107, 16, v57
	v_lshrrev_b32_e32 v108, 16, v60
	v_fma_f16 v19, v35, v71, -v19
	v_fmac_f16_e32 v29, v36, v28
	v_fma_f16 v28, v36, v72, -v31
	v_fmac_f16_e32 v56, v12, v30
	v_fma_f16 v12, v12, v102, -v65
	v_mul_f16_e64 v30, v132, v103
	v_mul_f16_e64 v31, v132, v6
	;; [unrolled: 1-line block ×5, first 2 shown]
	v_fmac_f16_e32 v30, v13, v6
	v_fma_f16 v6, v13, v103, -v31
	v_fmac_f16_e32 v35, v14, v32
	v_fma_f16 v13, v14, v105, -v36
	v_fmac_f16_e32 v65, v15, v10
	v_mul_f16_e64 v10, v130, v10
	v_mul_f16_e64 v14, v129, v107
	;; [unrolled: 1-line block ×5, first 2 shown]
	v_fma_f16 v10, v15, v106, -v10
	v_fmac_f16_e32 v14, v33, v57
	v_fma_f16 v15, v33, v107, -v31
	v_fmac_f16_e32 v32, v34, v60
	v_fma_f16 v31, v34, v108, -v36
	v_add_f16_e32 v33, v104, v112
	v_add_f16_e32 v34, v3, v27
	v_sub_f16_e32 v3, v3, v27
	v_add_f16_e32 v27, v109, v62
	v_add_f16_e32 v57, v4, v11
	v_sub_f16_e32 v36, v104, v112
	v_sub_f16_e32 v60, v109, v62
	;; [unrolled: 1-line block ×3, first 2 shown]
	v_add_f16_e32 v11, v111, v59
	v_add_f16_e32 v62, v7, v8
	v_sub_f16_e32 v59, v59, v111
	v_sub_f16_e32 v7, v8, v7
	v_add_f16_e32 v8, v27, v33
	v_add_f16_e32 v68, v57, v34
	v_sub_f16_e32 v69, v27, v33
	v_sub_f16_e32 v70, v57, v34
	;; [unrolled: 1-line block ×6, first 2 shown]
	v_add_f16_e32 v71, v59, v60
	v_add_f16_e32 v72, v7, v4
	v_sub_f16_e32 v102, v59, v60
	v_sub_f16_e32 v103, v7, v4
	;; [unrolled: 1-line block ×3, first 2 shown]
	v_add_f16_e32 v8, v11, v8
	v_add_f16_e32 v11, v62, v68
	v_sub_f16_e32 v4, v4, v3
	v_sub_f16_e32 v59, v36, v59
	;; [unrolled: 1-line block ×3, first 2 shown]
	v_add_f16_e32 v36, v71, v36
	v_add_f16_e32 v3, v72, v3
	;; [unrolled: 1-line block ×4, first 2 shown]
	v_mul_f16_e32 v33, 0x3a52, v33
	v_mul_f16_e32 v34, 0x3a52, v34
	;; [unrolled: 1-line block ×8, first 2 shown]
	v_fmamk_f16 v8, v8, 0xbcab, v0
	v_fmamk_f16 v11, v11, 0xbcab, v58
	;; [unrolled: 1-line block ×4, first 2 shown]
	v_fma_f16 v62, v69, 0x39e0, -v62
	v_fma_f16 v68, v70, 0x39e0, -v68
	;; [unrolled: 1-line block ×4, first 2 shown]
	v_fmamk_f16 v69, v59, 0xb574, v71
	v_fmamk_f16 v70, v7, 0xb574, v72
	v_fma_f16 v59, v59, 0x3574, -v102
	v_fma_f16 v7, v7, 0x3574, -v103
	;; [unrolled: 1-line block ×4, first 2 shown]
	v_add_f16_e32 v27, v27, v8
	v_add_f16_e32 v57, v57, v11
	;; [unrolled: 1-line block ×6, first 2 shown]
	v_fmac_f16_e32 v69, 0xb70e, v36
	v_fmac_f16_e32 v70, 0xb70e, v3
	;; [unrolled: 1-line block ×6, first 2 shown]
	v_add_f16_e32 v3, v70, v27
	v_sub_f16_e32 v33, v57, v69
	v_add_f16_e32 v34, v7, v8
	v_sub_f16_e32 v36, v11, v59
	v_sub_f16_e32 v7, v8, v7
	v_add_f16_e32 v8, v59, v11
	v_sub_f16_e32 v11, v27, v70
	v_add_f16_e32 v27, v69, v57
	v_add_f16_e32 v57, v61, v29
	;; [unrolled: 1-line block ×3, first 2 shown]
	v_sub_f16_e32 v29, v61, v29
	v_sub_f16_e32 v16, v16, v28
	v_add_f16_e32 v28, v64, v67
	v_add_f16_e32 v61, v5, v19
	v_sub_f16_e32 v71, v62, v4
	v_add_f16_e32 v4, v4, v62
	v_sub_f16_e32 v62, v64, v67
	v_sub_f16_e32 v5, v5, v19
	v_add_f16_e32 v19, v17, v63
	v_add_f16_e32 v64, v18, v9
	v_sub_f16_e32 v17, v63, v17
	v_sub_f16_e32 v9, v9, v18
	v_add_f16_e32 v18, v28, v57
	v_add_f16_e32 v63, v61, v59
	v_lshrrev_b32_e32 v66, 16, v1
	v_add_f16_e32 v72, v60, v68
	v_sub_f16_e32 v60, v68, v60
	v_sub_f16_e32 v67, v28, v57
	;; [unrolled: 1-line block ×7, first 2 shown]
	v_add_f16_e32 v69, v17, v62
	v_add_f16_e32 v70, v9, v5
	v_sub_f16_e32 v102, v17, v62
	v_sub_f16_e32 v103, v9, v5
	;; [unrolled: 1-line block ×3, first 2 shown]
	v_add_f16_e32 v18, v19, v18
	v_add_f16_e32 v19, v64, v63
	v_sub_f16_e32 v5, v5, v16
	v_sub_f16_e32 v17, v29, v17
	;; [unrolled: 1-line block ×3, first 2 shown]
	v_add_f16_e32 v29, v69, v29
	v_add_f16_e32 v16, v70, v16
	;; [unrolled: 1-line block ×4, first 2 shown]
	v_mul_f16_e32 v57, 0x3a52, v57
	v_mul_f16_e32 v59, 0x3a52, v59
	;; [unrolled: 1-line block ×8, first 2 shown]
	v_fmamk_f16 v18, v18, 0xbcab, v1
	v_fmamk_f16 v19, v19, 0xbcab, v63
	;; [unrolled: 1-line block ×4, first 2 shown]
	v_fma_f16 v64, v67, 0x39e0, -v64
	v_fma_f16 v66, v68, 0x39e0, -v66
	;; [unrolled: 1-line block ×4, first 2 shown]
	v_fmamk_f16 v67, v17, 0xb574, v69
	v_fmamk_f16 v68, v9, 0xb574, v70
	v_fma_f16 v17, v17, 0x3574, -v102
	v_fma_f16 v9, v9, 0x3574, -v103
	;; [unrolled: 1-line block ×4, first 2 shown]
	v_add_f16_e32 v28, v28, v18
	v_add_f16_e32 v61, v61, v19
	v_add_f16_e32 v64, v64, v18
	v_add_f16_e32 v66, v66, v19
	v_add_f16_e32 v18, v57, v18
	v_add_f16_e32 v19, v59, v19
	v_fmac_f16_e32 v67, 0xb70e, v29
	v_fmac_f16_e32 v68, 0xb70e, v16
	;; [unrolled: 1-line block ×6, first 2 shown]
	v_add_f16_e32 v16, v68, v28
	v_sub_f16_e32 v29, v61, v67
	v_add_f16_e32 v57, v9, v18
	v_sub_f16_e32 v59, v19, v17
	v_sub_f16_e32 v9, v18, v9
	v_add_f16_e32 v17, v17, v19
	v_sub_f16_e32 v18, v28, v68
	v_add_f16_e32 v19, v67, v61
	v_add_f16_e32 v28, v56, v32
	;; [unrolled: 1-line block ×3, first 2 shown]
	v_sub_f16_e32 v32, v56, v32
	v_sub_f16_e32 v12, v12, v31
	v_add_f16_e32 v31, v30, v14
	v_add_f16_e32 v56, v6, v15
	v_sub_f16_e32 v69, v64, v5
	v_add_f16_e32 v5, v5, v64
	v_sub_f16_e32 v14, v30, v14
	v_sub_f16_e32 v6, v6, v15
	v_add_f16_e32 v15, v35, v65
	v_add_f16_e32 v30, v13, v10
	v_sub_f16_e32 v35, v65, v35
	v_sub_f16_e32 v10, v10, v13
	v_add_f16_e32 v13, v31, v28
	v_add_f16_e32 v64, v56, v61
	v_lshrrev_b32_e32 v101, 16, v2
	v_add_f16_e32 v70, v62, v66
	v_sub_f16_e32 v62, v66, v62
	v_sub_f16_e32 v65, v31, v28
	;; [unrolled: 1-line block ×7, first 2 shown]
	v_add_f16_e32 v67, v35, v14
	v_add_f16_e32 v68, v10, v6
	v_sub_f16_e32 v102, v35, v14
	v_sub_f16_e32 v103, v10, v6
	v_add_f16_e32 v13, v15, v13
	v_add_f16_e32 v15, v30, v64
	v_sub_f16_e32 v14, v14, v32
	v_sub_f16_e32 v6, v6, v12
	;; [unrolled: 1-line block ×4, first 2 shown]
	v_add_f16_e32 v30, v67, v32
	v_add_f16_e32 v12, v68, v12
	;; [unrolled: 1-line block ×4, first 2 shown]
	v_mul_f16_e32 v28, 0x3a52, v28
	v_mul_f16_e32 v61, 0x3a52, v61
	;; [unrolled: 1-line block ×8, first 2 shown]
	v_fmamk_f16 v13, v13, 0xbcab, v2
	v_fmamk_f16 v15, v15, 0xbcab, v32
	;; [unrolled: 1-line block ×4, first 2 shown]
	v_fma_f16 v64, v65, 0x39e0, -v64
	v_fma_f16 v67, v66, 0x39e0, -v67
	;; [unrolled: 1-line block ×4, first 2 shown]
	v_fmamk_f16 v65, v35, 0xb574, v68
	v_fmamk_f16 v66, v10, 0xb574, v101
	v_fma_f16 v14, v14, 0xbb00, -v68
	v_fma_f16 v6, v6, 0xbb00, -v101
	;; [unrolled: 1-line block ×4, first 2 shown]
	v_pack_b32_f16 v0, v0, v58
	v_pack_b32_f16 v3, v3, v33
	v_add_f16_e32 v31, v31, v13
	v_add_f16_e32 v56, v56, v15
	v_fmac_f16_e32 v65, 0xb70e, v30
	v_fmac_f16_e32 v66, 0xb70e, v12
	v_add_f16_e32 v64, v64, v13
	v_add_f16_e32 v67, v67, v15
	;; [unrolled: 1-line block ×4, first 2 shown]
	v_fmac_f16_e32 v14, 0xb70e, v30
	v_fmac_f16_e32 v10, 0xb70e, v12
	;; [unrolled: 1-line block ×4, first 2 shown]
	ds_store_2addr_b32 v73, v0, v3 offset1:91
	v_pack_b32_f16 v0, v34, v36
	v_pack_b32_f16 v3, v71, v72
	v_add_f16_e32 v12, v66, v31
	v_sub_f16_e32 v28, v56, v65
	v_pack_b32_f16 v4, v4, v60
	v_pack_b32_f16 v7, v7, v8
	v_add_f16_e32 v30, v10, v13
	v_sub_f16_e32 v61, v15, v35
	v_sub_f16_e32 v68, v64, v6
	v_add_f16_e32 v101, v14, v67
	v_pack_b32_f16 v8, v11, v27
	v_pack_b32_f16 v1, v1, v63
	v_add_f16_e32 v6, v6, v64
	v_sub_f16_e32 v14, v67, v14
	v_sub_f16_e32 v10, v13, v10
	v_add_f16_e32 v13, v35, v15
	v_pack_b32_f16 v11, v16, v29
	v_pack_b32_f16 v16, v57, v59
	v_sub_f16_e32 v15, v31, v66
	v_add_f16_e32 v31, v65, v56
	v_pack_b32_f16 v27, v69, v70
	v_pack_b32_f16 v5, v5, v62
	ds_store_2addr_b32 v54, v0, v3 offset0:54 offset1:145
	ds_store_2addr_b32 v52, v4, v7 offset0:108 offset1:199
	;; [unrolled: 1-line block ×5, first 2 shown]
	v_pack_b32_f16 v0, v9, v17
	v_pack_b32_f16 v1, v18, v19
	;; [unrolled: 1-line block ×4, first 2 shown]
	v_add_nc_u32_e32 v4, 0x1200, v142
	v_pack_b32_f16 v5, v30, v61
	v_pack_b32_f16 v7, v68, v101
	v_add_nc_u32_e32 v8, 0x1600, v142
	v_pack_b32_f16 v6, v6, v14
	v_pack_b32_f16 v9, v10, v13
	v_add_nc_u32_e32 v10, 0x1800, v142
	v_pack_b32_f16 v11, v15, v31
	ds_store_2addr_b32 v53, v0, v1 offset0:68 offset1:159
	ds_store_2addr_b32 v4, v2, v3 offset0:122 offset1:213
	;; [unrolled: 1-line block ×4, first 2 shown]
	ds_store_b32 v142, v11 offset:7280
	global_wb scope:SCOPE_SE
	s_wait_dscnt 0x0
	s_barrier_signal -1
	s_barrier_wait -1
	global_inv scope:SCOPE_SE
	ds_load_2addr_b32 v[0:1], v73 offset1:91
	ds_load_2addr_b32 v[2:3], v51 offset0:34 offset1:125
	ds_load_2addr_b32 v[4:5], v26 offset0:122 offset1:213
	;; [unrolled: 1-line block ×9, first 2 shown]
	ds_load_b32 v30, v73 offset:7280
	s_wait_dscnt 0xa
	v_lshrrev_b32_e32 v27, 16, v0
	s_wait_dscnt 0x9
	v_lshrrev_b32_e32 v28, 16, v3
	;; [unrolled: 2-line block ×4, first 2 shown]
	v_lshrrev_b32_e32 v33, 16, v5
	v_lshrrev_b32_e32 v35, 16, v7
	v_mul_f16_e64 v66, v156, v28
	v_mul_f16_e64 v70, v155, v29
	;; [unrolled: 1-line block ×3, first 2 shown]
	s_wait_dscnt 0x5
	v_lshrrev_b32_e32 v36, 16, v10
	s_wait_dscnt 0x4
	v_lshrrev_b32_e32 v57, 16, v12
	v_fmac_f16_e32 v66, v41, v3
	v_mul_f16_e64 v3, v155, v4
	v_fmac_f16_e32 v70, v42, v4
	v_mul_f16_e64 v4, v154, v6
	v_fma_f16 v28, v41, v28, -v68
	v_mul_f16_e64 v41, v154, v32
	v_fma_f16 v3, v42, v29, -v3
	;; [unrolled: 2-line block ×3, first 2 shown]
	v_mul_f16_e64 v32, v152, v35
	v_lshrrev_b32_e32 v58, 16, v11
	v_lshrrev_b32_e32 v60, 16, v13
	s_wait_dscnt 0x2
	v_lshrrev_b32_e32 v61, 16, v16
	v_fmac_f16_e32 v41, v43, v6
	v_mul_f16_e64 v6, v153, v5
	v_fmac_f16_e32 v29, v44, v5
	v_mul_f16_e64 v5, v152, v7
	;; [unrolled: 2-line block ×3, first 2 shown]
	s_wait_dscnt 0x1
	v_lshrrev_b32_e32 v63, 16, v18
	v_fma_f16 v6, v44, v33, -v6
	v_mul_f16_e64 v33, v151, v36
	v_fma_f16 v5, v45, v35, -v5
	v_mul_f16_e64 v35, v150, v57
	;; [unrolled: 2-line block ×3, first 2 shown]
	v_mul_f16_e64 v42, v148, v60
	v_mul_f16_e64 v43, v147, v61
	v_lshrrev_b32_e32 v64, 16, v17
	v_lshrrev_b32_e32 v67, 16, v19
	v_fmac_f16_e32 v33, v46, v10
	v_mul_f16_e64 v10, v150, v12
	v_fmac_f16_e32 v35, v47, v12
	v_mul_f16_e64 v12, v149, v11
	;; [unrolled: 2-line block ×4, first 2 shown]
	v_mul_f16_e64 v44, v146, v63
	v_fmac_f16_e32 v43, v50, v16
	v_mul_f16_e64 v16, v146, v18
	s_wait_dscnt 0x0
	v_lshrrev_b32_e32 v69, 16, v30
	v_mul_f16_e64 v45, v145, v64
	v_fmac_f16_e32 v44, v39, v18
	v_mul_f16_e64 v18, v145, v17
	v_fma_f16 v16, v39, v63, -v16
	v_mul_f16_e64 v39, v144, v67
	v_fmac_f16_e32 v45, v40, v17
	v_mul_f16_e64 v17, v144, v19
	v_fma_f16 v18, v40, v64, -v18
	;; [unrolled: 4-line block ×3, first 2 shown]
	v_add_f16_e32 v37, v66, v70
	v_fmac_f16_e32 v40, v38, v30
	v_add_f16_e32 v30, v0, v66
	v_fma_f16 v19, v38, v69, -v19
	v_add_f16_e32 v38, v28, v3
	v_fma_f16 v0, -0.5, v37, v0
	v_sub_f16_e32 v37, v28, v3
	v_add_f16_e32 v28, v27, v28
	v_lshrrev_b32_e32 v31, 16, v1
	v_fmac_f16_e32 v27, -0.5, v38
	v_sub_f16_e32 v38, v66, v70
	v_fma_f16 v10, v47, v57, -v10
	v_fmamk_f16 v46, v37, 0xbaee, v0
	v_fmac_f16_e32 v0, 0x3aee, v37
	v_add_f16_e32 v3, v28, v3
	v_add_f16_e32 v28, v41, v29
	v_fmamk_f16 v37, v38, 0x3aee, v27
	v_add_f16_e32 v47, v1, v41
	v_fmac_f16_e32 v27, 0xbaee, v38
	v_add_f16_e32 v38, v4, v6
	v_fmac_f16_e32 v1, -0.5, v28
	v_sub_f16_e32 v28, v4, v6
	v_add_f16_e32 v47, v47, v29
	v_add_f16_e32 v4, v31, v4
	v_fmac_f16_e32 v31, -0.5, v38
	v_sub_f16_e32 v29, v41, v29
	v_lshrrev_b32_e32 v34, 16, v8
	v_fmamk_f16 v38, v28, 0xbaee, v1
	v_fmac_f16_e32 v1, 0x3aee, v28
	v_add_f16_e32 v4, v4, v6
	v_add_f16_e32 v6, v32, v33
	v_fmamk_f16 v28, v29, 0x3aee, v31
	v_fmac_f16_e32 v31, 0xbaee, v29
	v_add_f16_e32 v29, v5, v7
	v_fma_f16 v12, v48, v58, -v12
	v_add_f16_e32 v41, v8, v32
	v_fma_f16 v6, -0.5, v6, v8
	v_sub_f16_e32 v8, v5, v7
	v_add_f16_e32 v5, v34, v5
	v_fmac_f16_e32 v34, -0.5, v29
	v_sub_f16_e32 v29, v32, v33
	v_lshrrev_b32_e32 v56, 16, v9
	v_fmamk_f16 v32, v8, 0xbaee, v6
	v_fmac_f16_e32 v6, 0x3aee, v8
	v_add_f16_e32 v5, v5, v7
	v_add_f16_e32 v7, v35, v36
	v_fmamk_f16 v8, v29, 0x3aee, v34
	v_fmac_f16_e32 v34, 0xbaee, v29
	v_add_f16_e32 v29, v10, v12
	v_fma_f16 v11, v49, v60, -v11
	v_fma_f16 v13, v50, v61, -v13
	v_add_f16_e32 v41, v41, v33
	v_add_f16_e32 v33, v9, v35
	v_fmac_f16_e32 v9, -0.5, v7
	v_sub_f16_e32 v7, v10, v12
	v_add_f16_e32 v10, v56, v10
	v_fmac_f16_e32 v56, -0.5, v29
	v_sub_f16_e32 v29, v35, v36
	v_lshrrev_b32_e32 v59, 16, v14
	v_fmamk_f16 v35, v7, 0xbaee, v9
	v_fmac_f16_e32 v9, 0x3aee, v7
	v_add_f16_e32 v7, v10, v12
	v_add_f16_e32 v10, v42, v43
	v_fmamk_f16 v12, v29, 0x3aee, v56
	v_fmac_f16_e32 v56, 0xbaee, v29
	v_add_f16_e32 v29, v11, v13
	v_add_f16_e32 v33, v33, v36
	;; [unrolled: 1-line block ×3, first 2 shown]
	v_fma_f16 v10, -0.5, v10, v14
	v_sub_f16_e32 v14, v11, v13
	v_add_f16_e32 v11, v59, v11
	v_fmac_f16_e32 v59, -0.5, v29
	v_sub_f16_e32 v29, v42, v43
	v_lshrrev_b32_e32 v62, 16, v15
	v_fmamk_f16 v42, v14, 0xbaee, v10
	v_fmac_f16_e32 v10, 0x3aee, v14
	v_add_f16_e32 v11, v11, v13
	v_add_f16_e32 v13, v44, v45
	v_fmamk_f16 v14, v29, 0x3aee, v59
	v_fmac_f16_e32 v59, 0xbaee, v29
	v_add_f16_e32 v29, v16, v18
	v_lshrrev_b32_e32 v65, 16, v2
	v_add_f16_e32 v36, v36, v43
	v_add_f16_e32 v43, v15, v44
	v_fmac_f16_e32 v15, -0.5, v13
	v_sub_f16_e32 v13, v16, v18
	v_add_f16_e32 v16, v62, v16
	v_fmac_f16_e32 v62, -0.5, v29
	v_sub_f16_e32 v29, v44, v45
	v_add_f16_e32 v43, v43, v45
	v_fmamk_f16 v44, v13, 0xbaee, v15
	v_add_f16_e32 v45, v39, v40
	v_fmac_f16_e32 v15, 0x3aee, v13
	v_add_f16_e32 v13, v16, v18
	v_fmamk_f16 v16, v29, 0x3aee, v62
	v_fmac_f16_e32 v62, 0xbaee, v29
	v_add_f16_e32 v29, v65, v17
	v_add_f16_e32 v30, v30, v70
	;; [unrolled: 1-line block ×3, first 2 shown]
	v_fmac_f16_e32 v2, -0.5, v45
	v_sub_f16_e32 v45, v17, v19
	v_add_f16_e32 v17, v17, v19
	v_add_f16_e32 v19, v29, v19
	v_pack_b32_f16 v29, v46, v37
	v_pack_b32_f16 v0, v0, v27
	;; [unrolled: 1-line block ×4, first 2 shown]
	ds_store_b32 v73, v29 offset:2548
	ds_store_b32 v73, v0 offset:5096
	ds_store_2addr_b32 v73, v3, v4 offset1:91
	v_pack_b32_f16 v0, v38, v28
	v_pack_b32_f16 v3, v32, v8
	v_fmac_f16_e32 v65, -0.5, v17
	v_sub_f16_e32 v17, v39, v40
	v_pack_b32_f16 v1, v1, v31
	v_pack_b32_f16 v4, v41, v5
	;; [unrolled: 1-line block ×3, first 2 shown]
	v_add_nc_u32_e32 v6, 0x1400, v73
	ds_store_2addr_b32 v24, v0, v3 offset0:88 offset1:179
	v_pack_b32_f16 v0, v35, v12
	v_pack_b32_f16 v3, v42, v14
	;; [unrolled: 1-line block ×3, first 2 shown]
	v_add_f16_e32 v18, v18, v40
	v_fmamk_f16 v48, v45, 0xbaee, v2
	v_fmamk_f16 v27, v17, 0x3aee, v65
	v_fmac_f16_e32 v2, 0x3aee, v45
	v_fmac_f16_e32 v65, 0xbaee, v17
	ds_store_2addr_b32 v6, v1, v5 offset0:85 offset1:176
	ds_store_2addr_b32 v54, v4, v7 offset0:54 offset1:145
	v_pack_b32_f16 v1, v9, v56
	ds_store_2addr_b32 v55, v0, v3 offset0:142 offset1:233
	v_pack_b32_f16 v0, v10, v59
	v_pack_b32_f16 v4, v36, v11
	;; [unrolled: 1-line block ×8, first 2 shown]
	v_add_nc_u32_e32 v9, 0x1a00, v73
	ds_store_2addr_b32 v23, v1, v0 offset0:11 offset1:102
	ds_store_2addr_b32 v52, v4, v3 offset0:108 offset1:199
	ds_store_b32 v73, v7 offset:2184
	ds_store_2addr_b32 v53, v5, v8 offset0:68 offset1:159
	ds_store_2addr_b32 v9, v6, v2 offset0:65 offset1:156
	global_wb scope:SCOPE_SE
	s_wait_dscnt 0x0
	s_barrier_signal -1
	s_barrier_wait -1
	global_inv scope:SCOPE_SE
	ds_load_2addr_b32 v[0:1], v73 offset1:147
	s_wait_dscnt 0x0
	v_lshrrev_b32_e32 v4, 16, v0
	s_delay_alu instid0(VALU_DEP_1) | instskip(NEXT) | instid1(VALU_DEP_1)
	v_mul_f16_e32 v2, v100, v4
	v_fmac_f16_e32 v2, v98, v0
	v_mul_f16_e32 v0, v100, v0
	s_delay_alu instid0(VALU_DEP_2) | instskip(NEXT) | instid1(VALU_DEP_2)
	v_cvt_f32_f16_e32 v2, v2
	v_fma_f16 v0, v98, v4, -v0
	s_delay_alu instid0(VALU_DEP_2) | instskip(NEXT) | instid1(VALU_DEP_2)
	v_cvt_f64_f32_e32 v[2:3], v2
	v_cvt_f32_f16_e32 v0, v0
	s_delay_alu instid0(VALU_DEP_1) | instskip(SKIP_1) | instid1(VALU_DEP_1)
	v_cvt_f64_f32_e32 v[4:5], v0
	v_lshrrev_b32_e32 v0, 16, v1
	v_mul_f16_e32 v6, v99, v0
	s_delay_alu instid0(VALU_DEP_1) | instskip(SKIP_1) | instid1(VALU_DEP_2)
	v_fmac_f16_e32 v6, v96, v1
	v_mul_f16_e32 v1, v99, v1
	v_cvt_f32_f16_e32 v6, v6
	s_delay_alu instid0(VALU_DEP_2) | instskip(NEXT) | instid1(VALU_DEP_1)
	v_fma_f16 v0, v96, v0, -v1
	v_cvt_f32_f16_e32 v9, v0
	v_mad_co_u64_u32 v[0:1], null, s6, v22, 0
	s_wait_alu 0xfffe
	v_mul_f64_e32 v[2:3], s[8:9], v[2:3]
	v_mul_f64_e32 v[4:5], s[8:9], v[4:5]
	s_delay_alu instid0(VALU_DEP_2) | instskip(SKIP_3) | instid1(VALU_DEP_4)
	v_and_or_b32 v2, 0x1ff, v3, v2
	v_lshrrev_b32_e32 v7, 8, v3
	v_bfe_u32 v10, v3, 20, 11
	v_lshrrev_b32_e32 v17, 16, v3
	v_cmp_ne_u32_e64 s0, 0, v2
	v_and_or_b32 v4, 0x1ff, v5, v4
	v_lshrrev_b32_e32 v8, 8, v5
	v_bfe_u32 v14, v5, 20, 11
	v_add_nc_u32_e32 v16, 0xfffffc10, v10
	s_wait_alu 0xf1ff
	v_cndmask_b32_e64 v2, 0, 1, s0
	v_cmp_ne_u32_e64 s0, 0, v4
	v_lshrrev_b32_e32 v5, 16, v5
	v_sub_nc_u32_e32 v15, 0x3f1, v14
	v_add_nc_u32_e32 v14, 0xfffffc10, v14
	v_and_or_b32 v12, 0xffe, v7, v2
	v_cvt_f64_f32_e32 v[6:7], v6
	v_sub_nc_u32_e32 v2, 0x3f1, v10
	s_wait_alu 0xf1ff
	v_cndmask_b32_e64 v4, 0, 1, s0
	v_cmp_gt_i32_e64 s2, 1, v14
	v_or_b32_e32 v11, 0x1000, v12
	v_med3_i32 v2, v2, 0, 13
	s_delay_alu instid0(VALU_DEP_4) | instskip(SKIP_1) | instid1(VALU_DEP_3)
	v_and_or_b32 v4, 0xffe, v8, v4
	v_cvt_f64_f32_e32 v[8:9], v9
	v_lshrrev_b32_e32 v13, v2, v11
	s_delay_alu instid0(VALU_DEP_3) | instskip(NEXT) | instid1(VALU_DEP_2)
	v_or_b32_e32 v10, 0x1000, v4
	v_lshlrev_b32_e32 v2, v2, v13
	s_delay_alu instid0(VALU_DEP_1) | instskip(SKIP_2) | instid1(VALU_DEP_2)
	v_cmp_ne_u32_e64 s0, v2, v11
	v_med3_i32 v11, v15, 0, 13
	s_wait_alu 0xf1ff
	v_cndmask_b32_e64 v2, 0, 1, s0
	s_delay_alu instid0(VALU_DEP_2) | instskip(SKIP_1) | instid1(VALU_DEP_3)
	v_lshrrev_b32_e32 v15, v11, v10
	v_cmp_gt_i32_e64 s0, 1, v16
	v_or_b32_e32 v2, v13, v2
	v_lshl_or_b32 v13, v16, 12, v12
	s_delay_alu instid0(VALU_DEP_4) | instskip(SKIP_1) | instid1(VALU_DEP_2)
	v_lshlrev_b32_e32 v11, v11, v15
	s_wait_alu 0xf1ff
	v_cndmask_b32_e64 v13, v13, v2, s0
	v_mul_f64_e32 v[6:7], s[8:9], v[6:7]
	s_delay_alu instid0(VALU_DEP_3) | instskip(SKIP_1) | instid1(VALU_DEP_4)
	v_cmp_ne_u32_e64 s0, v11, v10
	v_mad_co_u64_u32 v[1:2], null, s7, v22, v[1:2]
	v_and_b32_e32 v2, 7, v13
	v_lshrrev_b32_e32 v13, 2, v13
	s_wait_alu 0xf1ff
	v_cndmask_b32_e64 v10, 0, 1, s0
	v_mul_f64_e32 v[8:9], s[8:9], v[8:9]
	v_cmp_lt_i32_e64 s0, 5, v2
	v_cmp_eq_u32_e64 s1, 3, v2
	s_delay_alu instid0(VALU_DEP_4)
	v_or_b32_e32 v2, v15, v10
	v_lshl_or_b32 v15, v14, 12, v4
	ds_load_2addr_b32 v[10:11], v52 offset0:38 offset1:185
	v_lshlrev_b64_e32 v[0:1], 2, v[0:1]
	s_or_b32 s0, s1, s0
	s_wait_alu 0xfffe
	v_add_co_ci_u32_e64 v13, s0, 0, v13, s0
	v_cndmask_b32_e64 v2, v15, v2, s2
	v_cmp_ne_u32_e64 s0, 0, v12
	v_cmp_eq_u32_e64 s2, 0x40f, v16
	s_delay_alu instid0(VALU_DEP_3) | instskip(SKIP_1) | instid1(VALU_DEP_3)
	v_and_b32_e32 v15, 7, v2
	s_wait_alu 0xf1ff
	v_cndmask_b32_e64 v12, 0, 1, s0
	v_cmp_gt_i32_e64 s0, 31, v16
	v_lshrrev_b32_e32 v2, 2, v2
	v_cmp_eq_u32_e64 s1, 3, v15
	s_delay_alu instid0(VALU_DEP_4)
	v_lshl_or_b32 v12, v12, 9, 0x7c00
	s_wait_alu 0xf1ff
	v_cndmask_b32_e64 v13, 0x7c00, v13, s0
	v_cmp_lt_i32_e64 s0, 5, v15
	s_wait_dscnt 0x0
	v_lshrrev_b32_e32 v16, 16, v10
	s_delay_alu instid0(VALU_DEP_3) | instskip(NEXT) | instid1(VALU_DEP_3)
	v_cndmask_b32_e64 v15, v13, v12, s2
	s_or_b32 s0, s1, s0
	v_and_or_b32 v6, 0x1ff, v7, v6
	s_wait_alu 0xfffe
	v_add_co_ci_u32_e64 v2, s0, 0, v2, s0
	v_cmp_gt_i32_e64 s0, 31, v14
	v_mul_f16_e32 v3, v97, v16
	v_bfe_u32 v19, v7, 20, 11
	v_and_or_b32 v15, 0x8000, v17, v15
	s_wait_alu 0xf1ff
	v_cndmask_b32_e64 v18, 0x7c00, v2, s0
	v_cmp_ne_u32_e64 s0, 0, v6
	v_fmac_f16_e32 v3, v94, v10
	v_lshrrev_b32_e32 v6, 8, v7
	v_sub_nc_u32_e32 v22, 0x3f1, v19
	v_and_or_b32 v8, 0x1ff, v9, v8
	s_wait_alu 0xf1ff
	v_cndmask_b32_e64 v2, 0, 1, s0
	v_cmp_ne_u32_e64 s0, 0, v4
	v_cvt_f32_f16_e32 v12, v3
	v_med3_i32 v22, v22, 0, 13
	v_mul_f16_e32 v10, v97, v10
	v_and_or_b32 v6, 0xffe, v6, v2
	s_wait_alu 0xf1ff
	v_cndmask_b32_e64 v4, 0, 1, s0
	v_cvt_f64_f32_e32 v[12:13], v12
	v_mad_co_u64_u32 v[2:3], null, s4, v93, 0
	v_or_b32_e32 v27, 0x1000, v6
	s_delay_alu instid0(VALU_DEP_4)
	v_lshl_or_b32 v4, v4, 9, 0x7c00
	v_cmp_eq_u32_e64 s0, 0x40f, v14
	v_add_nc_u32_e32 v19, 0xfffffc10, v19
	v_fma_f16 v10, v94, v16, -v10
	v_lshrrev_b32_e32 v17, v22, v27
	v_and_b32_e32 v15, 0xffff, v15
	s_wait_alu 0xf1ff
	v_cndmask_b32_e64 v14, v18, v4, s0
	v_mad_co_u64_u32 v[3:4], null, s5, v93, v[3:4]
	v_lshlrev_b32_e32 v4, v22, v17
	v_cmp_ne_u32_e64 s0, 0, v8
	v_lshrrev_b32_e32 v18, 8, v9
	v_bfe_u32 v22, v9, 20, 11
	v_cvt_f32_f16_e32 v10, v10
	v_and_or_b32 v14, 0x8000, v5, v14
	s_wait_alu 0xf1ff
	v_cndmask_b32_e64 v8, 0, 1, s0
	v_cmp_ne_u32_e64 s0, v4, v27
	v_sub_nc_u32_e32 v16, 0x3f1, v22
	v_lshrrev_b32_e32 v7, 16, v7
	v_lshl_or_b32 v28, v14, 16, v15
	v_and_or_b32 v8, 0xffe, v18, v8
	s_wait_alu 0xf1ff
	v_cndmask_b32_e64 v4, 0, 1, s0
	v_med3_i32 v16, v16, 0, 13
	v_cmp_gt_i32_e64 s0, 1, v19
	v_add_nc_u32_e32 v15, 0xfffffc10, v22
	v_or_b32_e32 v18, 0x1000, v8
	v_or_b32_e32 v4, v17, v4
	v_lshl_or_b32 v17, v19, 12, v6
	v_lshrrev_b32_e32 v22, 16, v11
	v_lshrrev_b32_e32 v9, 16, v9
	s_wait_alu 0xf1ff
	s_delay_alu instid0(VALU_DEP_3) | instskip(SKIP_3) | instid1(VALU_DEP_4)
	v_cndmask_b32_e64 v17, v17, v4, s0
	v_cvt_f64_f32_e32 v[4:5], v10
	v_lshrrev_b32_e32 v10, v16, v18
	v_mul_f64_e32 v[12:13], s[8:9], v[12:13]
	v_and_b32_e32 v27, 7, v17
	s_delay_alu instid0(VALU_DEP_3) | instskip(NEXT) | instid1(VALU_DEP_2)
	v_lshlrev_b32_e32 v16, v16, v10
	v_cmp_lt_i32_e64 s0, 5, v27
	v_cmp_eq_u32_e64 s1, 3, v27
	s_delay_alu instid0(VALU_DEP_3) | instskip(NEXT) | instid1(VALU_DEP_2)
	v_cmp_ne_u32_e64 s2, v16, v18
	s_or_b32 s0, s1, s0
	s_delay_alu instid0(VALU_DEP_1)
	v_cndmask_b32_e64 v14, 0, 1, s2
	v_add_co_u32 v16, s2, s10, v0
	v_lshrrev_b32_e32 v0, 2, v17
	s_wait_alu 0xf1ff
	v_add_co_ci_u32_e64 v18, s2, s11, v1, s2
	v_or_b32_e32 v1, v10, v14
	v_lshl_or_b32 v10, v15, 12, v8
	s_wait_alu 0xfffe
	v_add_co_ci_u32_e64 v0, s0, 0, v0, s0
	v_cmp_ne_u32_e64 s0, 0, v6
	s_wait_alu 0xf1ff
	s_delay_alu instid0(VALU_DEP_1) | instskip(SKIP_1) | instid1(VALU_DEP_2)
	v_cndmask_b32_e64 v6, 0, 1, s0
	v_cmp_gt_i32_e64 s0, 1, v15
	v_lshl_or_b32 v6, v6, 9, 0x7c00
	s_wait_alu 0xf1ff
	s_delay_alu instid0(VALU_DEP_2) | instskip(SKIP_1) | instid1(VALU_DEP_2)
	v_cndmask_b32_e64 v10, v10, v1, s0
	v_cmp_gt_i32_e64 s0, 31, v19
	v_and_b32_e32 v17, 7, v10
	s_wait_alu 0xf1ff
	s_delay_alu instid0(VALU_DEP_2)
	v_cndmask_b32_e64 v14, 0x7c00, v0, s0
	v_cmp_eq_u32_e64 s0, 0x40f, v19
	v_lshlrev_b64_e32 v[0:1], 2, v[2:3]
	v_mul_f64_e32 v[2:3], s[8:9], v[4:5]
	v_cmp_eq_u32_e64 s1, 3, v17
	v_mul_f16_e32 v4, v95, v22
	s_wait_alu 0xf1ff
	v_cndmask_b32_e64 v6, v14, v6, s0
	v_cmp_lt_i32_e64 s0, 5, v17
	v_lshrrev_b32_e32 v5, 2, v10
	v_bfe_u32 v14, v13, 20, 11
	v_fmac_f16_e32 v4, v91, v11
	v_and_or_b32 v6, 0x8000, v7, v6
	v_and_or_b32 v7, 0x1ff, v13, v12
	s_or_b32 s0, s1, s0
	v_lshrrev_b32_e32 v12, 8, v13
	s_wait_alu 0xfffe
	v_add_co_ci_u32_e64 v10, s0, 0, v5, s0
	v_cmp_ne_u32_e64 s0, 0, v7
	v_cvt_f32_f16_e32 v4, v4
	v_mul_f16_e32 v11, v95, v11
	v_lshrrev_b32_e32 v13, 16, v13
	s_wait_alu 0xf1ff
	v_cndmask_b32_e64 v7, 0, 1, s0
	v_cmp_ne_u32_e64 s0, 0, v8
	v_cvt_f64_f32_e32 v[4:5], v4
	v_fma_f16 v11, v91, v22, -v11
	s_delay_alu instid0(VALU_DEP_4)
	v_and_or_b32 v12, 0xffe, v12, v7
	s_wait_alu 0xf1ff
	v_cndmask_b32_e64 v8, 0, 1, s0
	v_sub_nc_u32_e32 v7, 0x3f1, v14
	v_cmp_gt_i32_e64 s0, 31, v15
	v_or_b32_e32 v17, 0x1000, v12
	s_delay_alu instid0(VALU_DEP_4) | instskip(NEXT) | instid1(VALU_DEP_4)
	v_lshl_or_b32 v8, v8, 9, 0x7c00
	v_med3_i32 v7, v7, 0, 13
	s_wait_alu 0xf1ff
	v_cndmask_b32_e64 v10, 0x7c00, v10, s0
	v_cmp_eq_u32_e64 s0, 0x40f, v15
	s_wait_alu 0xf1ff
	s_delay_alu instid0(VALU_DEP_1) | instskip(SKIP_4) | instid1(VALU_DEP_3)
	v_cndmask_b32_e64 v8, v10, v8, s0
	v_lshrrev_b32_e32 v10, v7, v17
	v_add_co_u32 v0, s0, v16, v0
	s_wait_alu 0xf1ff
	v_add_co_ci_u32_e64 v1, s0, v18, v1, s0
	v_lshlrev_b32_e32 v7, v7, v10
	v_and_or_b32 v2, 0x1ff, v3, v2
	v_and_b32_e32 v16, 0xffff, v6
	v_cvt_f32_f16_e32 v6, v11
	v_and_or_b32 v15, 0x8000, v9, v8
	v_cmp_ne_u32_e64 s0, v7, v17
	v_add_nc_u32_e32 v17, 0xfffffc10, v14
	v_lshrrev_b32_e32 v11, 8, v3
	v_cvt_f64_f32_e32 v[6:7], v6
	v_bfe_u32 v14, v3, 20, 11
	s_wait_alu 0xf1ff
	v_cndmask_b32_e64 v8, 0, 1, s0
	v_cmp_ne_u32_e64 s0, 0, v2
	v_lshl_or_b32 v18, v17, 12, v12
	v_lshl_or_b32 v16, v15, 16, v16
	v_lshrrev_b32_e32 v3, 16, v3
	v_or_b32_e32 v10, v10, v8
	s_wait_alu 0xf1ff
	v_cndmask_b32_e64 v2, 0, 1, s0
	ds_load_2addr_b32 v[8:9], v51 offset0:76 offset1:223
	v_cmp_gt_i32_e64 s0, 1, v17
	v_mul_f64_e32 v[4:5], s[8:9], v[4:5]
	v_and_or_b32 v2, 0xffe, v11, v2
	v_sub_nc_u32_e32 v11, 0x3f1, v14
	s_wait_alu 0xf1ff
	v_cndmask_b32_e64 v18, v18, v10, s0
	s_mul_u64 s[0:1], s[4:5], 0x93
	v_or_b32_e32 v19, 0x1000, v2
	v_med3_i32 v22, v11, 0, 13
	s_wait_alu 0xfffe
	s_lshl_b64 s[6:7], s[0:1], 2
	v_and_b32_e32 v15, 7, v18
	s_wait_alu 0xfffe
	v_add_co_u32 v10, s0, v0, s6
	v_lshrrev_b32_e32 v27, v22, v19
	s_wait_alu 0xf1ff
	v_add_co_ci_u32_e64 v11, s0, s7, v1, s0
	v_cmp_lt_i32_e64 s0, 5, v15
	v_cmp_eq_u32_e64 s1, 3, v15
	v_lshlrev_b32_e32 v22, v22, v27
	v_lshrrev_b32_e32 v15, 2, v18
	s_wait_dscnt 0x0
	v_lshrrev_b32_e32 v29, 16, v8
	s_clause 0x1
	global_store_b32 v[0:1], v28, off
	global_store_b32 v[10:11], v16, off
	s_or_b32 s0, s1, s0
	v_cmp_ne_u32_e64 s2, v22, v19
	s_wait_alu 0xfffe
	v_add_co_ci_u32_e64 v15, s0, 0, v15, s0
	v_add_nc_u32_e32 v19, 0xfffffc10, v14
	v_mul_f16_e32 v14, v92, v29
	s_wait_alu 0xf1ff
	v_cndmask_b32_e64 v18, 0, 1, s2
	v_cmp_ne_u32_e64 s0, 0, v12
	v_mul_f64_e32 v[6:7], s[8:9], v[6:7]
	v_lshl_or_b32 v22, v19, 12, v2
	v_fmac_f16_e32 v14, v89, v8
	v_or_b32_e32 v18, v27, v18
	s_wait_alu 0xf1ff
	v_cndmask_b32_e64 v12, 0, 1, s0
	v_cmp_gt_i32_e64 s0, 1, v19
	v_mul_f16_e32 v8, v92, v8
	v_cvt_f32_f16_e32 v14, v14
	v_and_or_b32 v4, 0x1ff, v5, v4
	v_lshl_or_b32 v12, v12, 9, 0x7c00
	s_wait_alu 0xf1ff
	v_cndmask_b32_e64 v18, v22, v18, s0
	v_cmp_gt_i32_e64 s0, 31, v17
	v_fma_f16 v8, v89, v29, -v8
	v_cmp_ne_u32_e64 s1, 0, v4
	s_delay_alu instid0(VALU_DEP_4)
	v_and_b32_e32 v27, 7, v18
	s_wait_alu 0xf1ff
	v_cndmask_b32_e64 v22, 0x7c00, v15, s0
	v_cvt_f64_f32_e32 v[14:15], v14
	v_cmp_eq_u32_e64 s0, 0x40f, v17
	v_cndmask_b32_e64 v4, 0, 1, s1
	v_cmp_eq_u32_e64 s1, 3, v27
	v_lshrrev_b32_e32 v17, 8, v5
	v_cvt_f32_f16_e32 v8, v8
	s_wait_alu 0xf1ff
	v_cndmask_b32_e64 v12, v22, v12, s0
	v_cmp_lt_i32_e64 s0, 5, v27
	v_bfe_u32 v22, v5, 20, 11
	v_and_or_b32 v4, 0xffe, v17, v4
	s_delay_alu instid0(VALU_DEP_4)
	v_and_or_b32 v27, 0x8000, v13, v12
	v_lshrrev_b32_e32 v12, 2, v18
	s_or_b32 s0, s1, s0
	v_sub_nc_u32_e32 v13, 0x3f1, v22
	v_or_b32_e32 v17, 0x1000, v4
	s_wait_alu 0xfffe
	v_add_co_ci_u32_e64 v12, s0, 0, v12, s0
	v_cmp_ne_u32_e64 s0, 0, v2
	v_med3_i32 v13, v13, 0, 13
	v_and_or_b32 v6, 0x1ff, v7, v6
	v_lshrrev_b32_e32 v29, 8, v7
	v_bfe_u32 v30, v7, 20, 11
	s_wait_alu 0xf1ff
	v_cndmask_b32_e64 v2, 0, 1, s0
	v_cmp_gt_i32_e64 s0, 31, v19
	v_lshrrev_b32_e32 v18, v13, v17
	v_lshrrev_b32_e32 v7, 16, v7
	s_delay_alu instid0(VALU_DEP_4)
	v_lshl_or_b32 v2, v2, 9, 0x7c00
	s_wait_alu 0xf1ff
	v_cndmask_b32_e64 v12, 0x7c00, v12, s0
	v_cmp_eq_u32_e64 s0, 0x40f, v19
	v_lshlrev_b32_e32 v19, v13, v18
	s_wait_alu 0xf1ff
	s_delay_alu instid0(VALU_DEP_2) | instskip(SKIP_3) | instid1(VALU_DEP_4)
	v_cndmask_b32_e64 v2, v12, v2, s0
	v_cmp_ne_u32_e64 s0, 0, v6
	v_mul_f64_e32 v[12:13], s[8:9], v[14:15]
	v_cvt_f64_f32_e32 v[14:15], v8
	v_and_or_b32 v2, 0x8000, v3, v2
	s_wait_alu 0xf1ff
	v_cndmask_b32_e64 v6, 0, 1, s0
	v_cmp_ne_u32_e64 s0, v19, v17
	v_add_nc_u32_e32 v17, 0xfffffc10, v22
	v_sub_nc_u32_e32 v19, 0x3f1, v30
	v_and_b32_e32 v3, 0xffff, v27
	v_and_or_b32 v6, 0xffe, v29, v6
	s_wait_alu 0xf1ff
	v_cndmask_b32_e64 v8, 0, 1, s0
	v_cmp_gt_i32_e64 s0, 1, v17
	v_med3_i32 v19, v19, 0, 13
	v_lshl_or_b32 v16, v2, 16, v3
	v_or_b32_e32 v22, 0x1000, v6
	v_or_b32_e32 v8, v18, v8
	v_lshl_or_b32 v18, v17, 12, v4
	s_wait_alu 0xf1ff
	s_delay_alu instid0(VALU_DEP_1)
	v_cndmask_b32_e64 v8, v18, v8, s0
	v_lshrrev_b32_e32 v18, v19, v22
	v_add_co_u32 v0, s0, v10, s6
	s_wait_alu 0xf1ff
	v_add_co_ci_u32_e64 v1, s0, s7, v11, s0
	v_and_b32_e32 v2, 7, v8
	v_lshlrev_b32_e32 v3, v19, v18
	v_add_nc_u32_e32 v19, 0xfffffc10, v30
	global_store_b32 v[0:1], v16, off
	v_cmp_lt_i32_e64 s0, 5, v2
	v_cmp_eq_u32_e64 s1, 3, v2
	v_lshrrev_b32_e32 v2, 2, v8
	v_cmp_ne_u32_e64 s2, v3, v22
	v_lshrrev_b32_e32 v8, 16, v9
	s_delay_alu instid0(VALU_DEP_4)
	s_or_b32 s0, s1, s0
	v_and_or_b32 v12, 0x1ff, v13, v12
	s_wait_alu 0xfffe
	v_add_co_ci_u32_e64 v22, s0, 0, v2, s0
	v_cndmask_b32_e64 v3, 0, 1, s2
	v_cmp_ne_u32_e64 s0, 0, v4
	v_mul_f16_e32 v10, v90, v8
	s_delay_alu instid0(VALU_DEP_3)
	v_or_b32_e32 v11, v18, v3
	v_lshl_or_b32 v18, v19, 12, v6
	v_mul_f64_e32 v[2:3], s[8:9], v[14:15]
	s_wait_alu 0xf1ff
	v_cndmask_b32_e64 v4, 0, 1, s0
	v_cmp_gt_i32_e64 s0, 1, v19
	v_fmac_f16_e32 v10, v87, v9
	v_lshrrev_b32_e32 v15, 8, v13
	v_mul_f16_e32 v9, v90, v9
	v_lshl_or_b32 v4, v4, 9, 0x7c00
	s_wait_alu 0xf1ff
	v_cndmask_b32_e64 v14, v18, v11, s0
	v_cmp_ne_u32_e64 s0, 0, v12
	v_cvt_f32_f16_e32 v10, v10
	v_bfe_u32 v18, v13, 20, 11
	v_fma_f16 v8, v87, v8, -v9
	v_and_b32_e32 v27, 7, v14
	s_wait_alu 0xf1ff
	v_cndmask_b32_e64 v12, 0, 1, s0
	v_cmp_gt_i32_e64 s0, 31, v17
	v_cvt_f64_f32_e32 v[10:11], v10
	v_lshrrev_b32_e32 v13, 16, v13
	v_cmp_eq_u32_e64 s1, 3, v27
	v_and_or_b32 v12, 0xffe, v15, v12
	s_wait_alu 0xf1ff
	v_cndmask_b32_e64 v22, 0x7c00, v22, s0
	v_cmp_eq_u32_e64 s0, 0x40f, v17
	v_sub_nc_u32_e32 v15, 0x3f1, v18
	s_wait_alu 0xf1ff
	s_delay_alu instid0(VALU_DEP_2)
	v_cndmask_b32_e64 v17, v22, v4, s0
	v_cmp_lt_i32_e64 s0, 5, v27
	v_lshrrev_b32_e32 v22, 16, v5
	v_lshrrev_b32_e32 v5, 2, v14
	v_or_b32_e32 v4, 0x1000, v12
	v_med3_i32 v15, v15, 0, 13
	s_or_b32 s0, s1, s0
	v_and_or_b32 v17, 0x8000, v22, v17
	s_wait_alu 0xfffe
	v_add_co_ci_u32_e64 v5, s0, 0, v5, s0
	v_lshrrev_b32_e32 v14, v15, v4
	v_cmp_ne_u32_e64 s0, 0, v6
	v_and_b32_e32 v17, 0xffff, v17
	v_and_or_b32 v2, 0x1ff, v3, v2
	v_bfe_u32 v28, v3, 20, 11
	v_lshlrev_b32_e32 v15, v15, v14
	s_wait_alu 0xf1ff
	v_cndmask_b32_e64 v6, 0, 1, s0
	v_cmp_gt_i32_e64 s0, 31, v19
	s_delay_alu instid0(VALU_DEP_2) | instskip(SKIP_1) | instid1(VALU_DEP_2)
	v_lshl_or_b32 v6, v6, 9, 0x7c00
	s_wait_alu 0xf1ff
	v_cndmask_b32_e64 v27, 0x7c00, v5, s0
	v_cmp_ne_u32_e64 s0, v15, v4
	v_cvt_f32_f16_e32 v5, v8
	v_add_nc_u32_e32 v15, 0xfffffc10, v18
	v_lshrrev_b32_e32 v18, 8, v3
	s_wait_alu 0xf1ff
	v_cndmask_b32_e64 v8, 0, 1, s0
	v_cmp_ne_u32_e64 s0, 0, v2
	v_cvt_f64_f32_e32 v[4:5], v5
	s_delay_alu instid0(VALU_DEP_3) | instskip(SKIP_1) | instid1(VALU_DEP_3)
	v_or_b32_e32 v14, v14, v8
	s_wait_alu 0xf1ff
	v_cndmask_b32_e64 v2, 0, 1, s0
	v_mul_f64_e32 v[8:9], s[8:9], v[10:11]
	v_lshl_or_b32 v10, v15, 12, v12
	v_sub_nc_u32_e32 v11, 0x3f1, v28
	v_cmp_gt_i32_e64 s0, 1, v15
	v_and_or_b32 v2, 0xffe, v18, v2
	v_add_nc_u32_e32 v18, 0xd00, v73
	s_delay_alu instid0(VALU_DEP_4)
	v_med3_i32 v30, v11, 0, 13
	s_wait_alu 0xf1ff
	v_cndmask_b32_e64 v14, v10, v14, s0
	v_or_b32_e32 v29, 0x1000, v2
	v_cmp_eq_u32_e64 s0, 0x40f, v19
	ds_load_2addr_b32 v[10:11], v18 offset0:50 offset1:197
	v_and_b32_e32 v19, 7, v14
	v_lshrrev_b32_e32 v18, v30, v29
	s_wait_alu 0xf1ff
	v_cndmask_b32_e64 v6, v27, v6, s0
	s_delay_alu instid0(VALU_DEP_3) | instskip(SKIP_1) | instid1(VALU_DEP_3)
	v_cmp_lt_i32_e64 s0, 5, v19
	v_cmp_eq_u32_e64 s1, 3, v19
	v_and_or_b32 v16, 0x8000, v7, v6
	v_lshlrev_b32_e32 v6, v30, v18
	v_lshrrev_b32_e32 v7, 2, v14
	v_add_nc_u32_e32 v14, 0xfffffc10, v28
	s_or_b32 s0, s1, s0
	v_lshl_or_b32 v16, v16, 16, v17
	v_cmp_ne_u32_e64 s2, v6, v29
	s_wait_alu 0xfffe
	v_add_co_ci_u32_e64 v7, s0, 0, v7, s0
	v_cmp_ne_u32_e64 s0, 0, v12
	v_lshl_or_b32 v19, v14, 12, v2
	s_wait_alu 0xf1ff
	v_cndmask_b32_e64 v6, 0, 1, s2
	v_cmp_eq_u32_e64 s2, 0x40f, v15
	v_mul_f64_e32 v[4:5], s[8:9], v[4:5]
	v_cndmask_b32_e64 v12, 0, 1, s0
	v_cmp_gt_i32_e64 s0, 1, v14
	v_or_b32_e32 v6, v18, v6
	s_wait_dscnt 0x0
	v_lshrrev_b32_e32 v18, 16, v10
	v_bfe_u32 v28, v9, 20, 11
	v_lshl_or_b32 v12, v12, 9, 0x7c00
	s_wait_alu 0xf1ff
	v_cndmask_b32_e64 v19, v19, v6, s0
	v_mul_f16_e32 v22, v88, v18
	v_and_or_b32 v6, 0x1ff, v9, v8
	v_cmp_gt_i32_e64 s0, 31, v15
	v_add_nc_u32_e32 v17, 0xfffffc10, v28
	s_delay_alu instid0(VALU_DEP_4) | instskip(SKIP_1) | instid1(VALU_DEP_3)
	v_fmac_f16_e32 v22, v85, v10
	s_wait_alu 0xf1ff
	v_cndmask_b32_e64 v8, 0x7c00, v7, s0
	v_cmp_ne_u32_e64 s0, 0, v6
	v_and_b32_e32 v7, 7, v19
	v_cvt_f32_f16_e32 v6, v22
	v_lshrrev_b32_e32 v22, 8, v9
	v_cndmask_b32_e64 v8, v8, v12, s2
	s_wait_alu 0xf1ff
	v_cndmask_b32_e64 v27, 0, 1, s0
	v_cmp_lt_i32_e64 s0, 5, v7
	v_cmp_eq_u32_e64 s1, 3, v7
	v_cvt_f64_f32_e32 v[6:7], v6
	v_lshrrev_b32_e32 v12, 2, v19
	v_and_or_b32 v22, 0xffe, v22, v27
	v_sub_nc_u32_e32 v27, 0x3f1, v28
	s_or_b32 s0, s1, s0
	v_and_or_b32 v8, 0x8000, v13, v8
	s_wait_alu 0xfffe
	v_add_co_ci_u32_e64 v12, s0, 0, v12, s0
	v_or_b32_e32 v15, 0x1000, v22
	v_med3_i32 v19, v27, 0, 13
	v_cmp_ne_u32_e64 s0, 0, v2
	v_and_b32_e32 v8, 0xffff, v8
	v_lshrrev_b32_e32 v28, 16, v11
	v_lshrrev_b32_e32 v9, 16, v9
	;; [unrolled: 1-line block ×3, first 2 shown]
	s_wait_alu 0xf1ff
	v_cndmask_b32_e64 v2, 0, 1, s0
	v_cmp_gt_i32_e64 s0, 31, v14
	s_delay_alu instid0(VALU_DEP_3) | instskip(NEXT) | instid1(VALU_DEP_3)
	v_lshlrev_b32_e32 v13, v19, v27
	v_lshl_or_b32 v2, v2, 9, 0x7c00
	s_wait_alu 0xf1ff
	s_delay_alu instid0(VALU_DEP_3) | instskip(SKIP_4) | instid1(VALU_DEP_3)
	v_cndmask_b32_e64 v12, 0x7c00, v12, s0
	v_cmp_eq_u32_e64 s0, 0x40f, v14
	v_bfe_u32 v14, v5, 20, 11
	v_lshl_or_b32 v19, v17, 12, v22
	s_wait_alu 0xf1ff
	v_cndmask_b32_e64 v12, v12, v2, s0
	v_and_or_b32 v2, 0x1ff, v5, v4
	v_cmp_ne_u32_e64 s0, v13, v15
	v_lshrrev_b32_e32 v4, 16, v3
	v_mul_f16_e32 v3, v88, v10
	v_lshrrev_b32_e32 v13, 8, v5
	s_wait_alu 0xf1ff
	v_cndmask_b32_e64 v10, 0, 1, s0
	v_cmp_ne_u32_e64 s0, 0, v2
	v_fma_f16 v3, v85, v18, -v3
	v_and_or_b32 v4, 0x8000, v4, v12
	s_delay_alu instid0(VALU_DEP_4)
	v_or_b32_e32 v10, v27, v10
	s_wait_alu 0xf1ff
	v_cndmask_b32_e64 v2, 0, 1, s0
	v_cvt_f32_f16_e32 v15, v3
	v_cmp_gt_i32_e64 s0, 1, v17
	v_lshl_or_b32 v27, v4, 16, v8
	s_delay_alu instid0(VALU_DEP_4)
	v_and_or_b32 v18, 0xffe, v13, v2
	v_mul_f64_e32 v[2:3], s[8:9], v[6:7]
	v_cvt_f64_f32_e32 v[6:7], v15
	v_sub_nc_u32_e32 v13, 0x3f1, v14
	s_wait_alu 0xf1ff
	v_cndmask_b32_e64 v10, v19, v10, s0
	v_or_b32_e32 v15, 0x1000, v18
	v_add_co_u32 v0, s0, v0, s6
	v_med3_i32 v13, v13, 0, 13
	s_wait_alu 0xf1ff
	v_add_co_ci_u32_e64 v1, s0, s7, v1, s0
	v_and_b32_e32 v4, 7, v10
	v_add_co_u32 v12, s0, v0, s6
	v_lshrrev_b32_e32 v19, v13, v15
	s_delay_alu instid0(VALU_DEP_3) | instskip(NEXT) | instid1(VALU_DEP_2)
	v_cmp_eq_u32_e64 s1, 3, v4
	v_lshlrev_b32_e32 v8, v13, v19
	s_wait_alu 0xf1ff
	v_add_co_ci_u32_e64 v13, s0, s7, v1, s0
	v_cmp_lt_i32_e64 s0, 5, v4
	v_lshrrev_b32_e32 v4, 2, v10
	v_cmp_ne_u32_e64 s2, v8, v15
	v_add_nc_u32_e32 v10, 0xfffffc10, v14
	v_mul_f16_e32 v15, v86, v28
	s_or_b32 s0, s1, s0
	s_wait_alu 0xfffe
	v_add_co_ci_u32_e64 v4, s0, 0, v4, s0
	v_cndmask_b32_e64 v8, 0, 1, s2
	v_cmp_ne_u32_e64 s0, 0, v22
	v_lshl_or_b32 v14, v10, 12, v18
	v_fmac_f16_e32 v15, v84, v11
	v_mul_f16_e32 v11, v86, v11
	v_or_b32_e32 v8, v19, v8
	s_wait_alu 0xf1ff
	v_cndmask_b32_e64 v19, 0, 1, s0
	v_cmp_gt_i32_e64 s0, 1, v10
	v_and_or_b32 v2, 0x1ff, v3, v2
	v_mul_f64_e32 v[6:7], s[8:9], v[6:7]
	v_lshrrev_b32_e32 v29, 8, v3
	v_lshl_or_b32 v19, v19, 9, 0x7c00
	s_wait_alu 0xf1ff
	v_cndmask_b32_e64 v8, v14, v8, s0
	v_cmp_gt_i32_e64 s0, 31, v17
	v_cvt_f32_f16_e32 v14, v15
	v_bfe_u32 v30, v3, 20, 11
	v_fma_f16 v11, v84, v28, -v11
	v_and_b32_e32 v22, 7, v8
	s_wait_alu 0xf1ff
	v_cndmask_b32_e64 v4, 0x7c00, v4, s0
	v_cmp_ne_u32_e64 s0, 0, v2
	v_cvt_f64_f32_e32 v[14:15], v14
	v_lshrrev_b32_e32 v8, 2, v8
	v_cmp_eq_u32_e64 s1, 3, v22
	v_cvt_f32_f16_e32 v11, v11
	s_wait_alu 0xf1ff
	v_cndmask_b32_e64 v2, 0, 1, s0
	v_cmp_eq_u32_e64 s0, 0x40f, v17
	v_sub_nc_u32_e32 v17, 0x3f1, v30
	s_delay_alu instid0(VALU_DEP_3) | instskip(SKIP_1) | instid1(VALU_DEP_3)
	v_and_or_b32 v2, 0xffe, v29, v2
	s_wait_alu 0xf1ff
	v_cndmask_b32_e64 v4, v4, v19, s0
	v_cmp_lt_i32_e64 s0, 5, v22
	v_med3_i32 v17, v17, 0, 13
	v_or_b32_e32 v19, 0x1000, v2
	s_delay_alu instid0(VALU_DEP_4) | instskip(NEXT) | instid1(VALU_DEP_4)
	v_and_or_b32 v29, 0x8000, v9, v4
	s_or_b32 s0, s1, s0
	s_wait_alu 0xfffe
	v_add_co_ci_u32_e64 v8, s0, 0, v8, s0
	v_cmp_ne_u32_e64 s0, 0, v18
	v_lshrrev_b32_e32 v22, v17, v19
	s_wait_alu 0xf1ff
	s_delay_alu instid0(VALU_DEP_2) | instskip(SKIP_1) | instid1(VALU_DEP_3)
	v_cndmask_b32_e64 v18, 0, 1, s0
	v_cmp_gt_i32_e64 s0, 31, v10
	v_lshlrev_b32_e32 v4, v17, v22
	v_and_or_b32 v6, 0x1ff, v7, v6
	v_bfe_u32 v31, v7, 20, 11
	v_lshl_or_b32 v18, v18, 9, 0x7c00
	s_wait_alu 0xf1ff
	v_cndmask_b32_e64 v28, 0x7c00, v8, s0
	v_cvt_f64_f32_e32 v[8:9], v11
	v_cmp_eq_u32_e64 s0, 0x40f, v10
	ds_load_2addr_b32 v[10:11], v26 offset0:24 offset1:171
	s_clause 0x1
	global_store_b32 v[0:1], v16, off
	global_store_b32 v[12:13], v27, off
	v_lshrrev_b32_e32 v27, 16, v3
	s_wait_alu 0xf1ff
	v_cndmask_b32_e64 v17, v28, v18, s0
	v_cmp_ne_u32_e64 s0, v4, v19
	v_lshrrev_b32_e32 v18, 16, v5
	v_mul_f64_e32 v[4:5], s[8:9], v[14:15]
	v_add_nc_u32_e32 v28, 0xfffffc10, v30
	v_lshrrev_b32_e32 v30, 8, v7
	s_wait_alu 0xf1ff
	v_cndmask_b32_e64 v19, 0, 1, s0
	v_cmp_ne_u32_e64 s0, 0, v6
	v_and_or_b32 v14, 0x8000, v18, v17
	v_lshl_or_b32 v17, v28, 12, v2
	v_sub_nc_u32_e32 v18, 0x3f1, v31
	v_or_b32_e32 v15, v22, v19
	s_wait_alu 0xf1ff
	v_cndmask_b32_e64 v6, 0, 1, s0
	v_cmp_gt_i32_e64 s0, 1, v28
	v_and_b32_e32 v19, 0xffff, v29
	v_med3_i32 v18, v18, 0, 13
	s_wait_dscnt 0x0
	v_lshrrev_b32_e32 v22, 16, v10
	v_and_or_b32 v6, 0xffe, v30, v6
	s_wait_alu 0xf1ff
	v_cndmask_b32_e64 v15, v17, v15, s0
	v_lshl_or_b32 v14, v14, 16, v19
	v_add_co_u32 v0, s0, v12, s6
	v_or_b32_e32 v17, 0x1000, v6
	s_delay_alu instid0(VALU_DEP_4)
	v_and_b32_e32 v16, 7, v15
	s_wait_alu 0xf1ff
	v_add_co_ci_u32_e64 v1, s0, s7, v13, s0
	v_lshrrev_b32_e32 v15, 2, v15
	v_lshrrev_b32_e32 v19, v18, v17
	v_cmp_lt_i32_e64 s0, 5, v16
	v_cmp_eq_u32_e64 s1, 3, v16
	v_add_nc_u32_e32 v16, 0xfffffc10, v31
	v_mul_f16_e32 v13, v83, v22
	v_lshlrev_b32_e32 v12, v18, v19
	v_mul_f64_e32 v[8:9], s[8:9], v[8:9]
	s_or_b32 s0, s1, s0
	v_lshl_or_b32 v18, v16, 12, v6
	s_wait_alu 0xfffe
	v_add_co_ci_u32_e64 v15, s0, 0, v15, s0
	v_cmp_ne_u32_e64 s2, v12, v17
	v_cmp_ne_u32_e64 s0, 0, v2
	v_fmac_f16_e32 v13, v82, v10
	v_and_or_b32 v4, 0x1ff, v5, v4
	v_mul_f16_e32 v10, v83, v10
	s_wait_alu 0xf1ff
	v_cndmask_b32_e64 v12, 0, 1, s2
	v_cndmask_b32_e64 v2, 0, 1, s0
	v_cmp_gt_i32_e64 s0, 1, v16
	v_lshrrev_b32_e32 v7, 16, v7
	v_fma_f16 v10, v82, v22, -v10
	v_or_b32_e32 v17, v19, v12
	v_cvt_f32_f16_e32 v12, v13
	v_bfe_u32 v19, v5, 20, 11
	v_lshl_or_b32 v2, v2, 9, 0x7c00
	v_cvt_f32_f16_e32 v10, v10
	s_wait_alu 0xf1ff
	v_cndmask_b32_e64 v17, v18, v17, s0
	v_cmp_ne_u32_e64 s0, 0, v4
	v_lshrrev_b32_e32 v18, 8, v5
	v_cvt_f64_f32_e32 v[12:13], v12
	global_store_b32 v[0:1], v14, off
	v_and_b32_e32 v26, 7, v17
	s_wait_alu 0xf1ff
	v_cndmask_b32_e64 v4, 0, 1, s0
	v_cmp_gt_i32_e64 s0, 31, v28
	v_lshrrev_b32_e32 v3, 2, v17
	v_lshrrev_b32_e32 v5, 16, v5
	v_cmp_eq_u32_e64 s1, 3, v26
	v_and_or_b32 v4, 0xffe, v18, v4
	s_wait_alu 0xf1ff
	v_cndmask_b32_e64 v15, 0x7c00, v15, s0
	v_sub_nc_u32_e32 v18, 0x3f1, v19
	v_cmp_eq_u32_e64 s0, 0x40f, v28
	v_add_nc_u32_e32 v19, 0xfffffc10, v19
	s_delay_alu instid0(VALU_DEP_3) | instskip(SKIP_1) | instid1(VALU_DEP_3)
	v_med3_i32 v18, v18, 0, 13
	s_wait_alu 0xf1ff
	v_cndmask_b32_e64 v15, v15, v2, s0
	v_or_b32_e32 v2, 0x1000, v4
	v_cmp_lt_i32_e64 s0, 5, v26
	v_and_or_b32 v8, 0x1ff, v9, v8
	v_bfe_u32 v22, v9, 20, 11
	v_and_or_b32 v14, 0x8000, v27, v15
	v_lshrrev_b32_e32 v17, v18, v2
	s_or_b32 s0, s1, s0
	s_wait_alu 0xfffe
	v_add_co_ci_u32_e64 v26, s0, 0, v3, s0
	s_delay_alu instid0(VALU_DEP_2) | instskip(SKIP_4) | instid1(VALU_DEP_3)
	v_lshlrev_b32_e32 v3, v18, v17
	v_cmp_ne_u32_e64 s0, 0, v8
	v_lshrrev_b32_e32 v18, 8, v9
	v_and_b32_e32 v14, 0xffff, v14
	s_wait_alu 0xf1ff
	v_cndmask_b32_e64 v8, 0, 1, s0
	v_cmp_ne_u32_e64 s0, v3, v2
	s_delay_alu instid0(VALU_DEP_2) | instskip(SKIP_1) | instid1(VALU_DEP_2)
	v_and_or_b32 v8, 0xffe, v18, v8
	s_wait_alu 0xf1ff
	v_cndmask_b32_e64 v28, 0, 1, s0
	v_cmp_ne_u32_e64 s0, 0, v6
	v_sub_nc_u32_e32 v18, 0x3f1, v22
	v_mul_f64_e32 v[2:3], s[8:9], v[12:13]
	v_cvt_f64_f32_e32 v[12:13], v10
	v_or_b32_e32 v10, v17, v28
	s_wait_alu 0xf1ff
	v_cndmask_b32_e64 v6, 0, 1, s0
	v_cmp_gt_i32_e64 s0, 31, v16
	v_lshl_or_b32 v17, v19, 12, v4
	v_or_b32_e32 v28, 0x1000, v8
	v_med3_i32 v18, v18, 0, 13
	v_lshl_or_b32 v6, v6, 9, 0x7c00
	s_wait_alu 0xf1ff
	v_cndmask_b32_e64 v26, 0x7c00, v26, s0
	v_cmp_gt_i32_e64 s0, 1, v19
	s_wait_alu 0xf1ff
	s_delay_alu instid0(VALU_DEP_1) | instskip(SKIP_2) | instid1(VALU_DEP_3)
	v_cndmask_b32_e64 v10, v17, v10, s0
	v_lshrrev_b32_e32 v17, v18, v28
	v_cmp_eq_u32_e64 s0, 0x40f, v16
	v_and_b32_e32 v16, 7, v10
	s_delay_alu instid0(VALU_DEP_3) | instskip(SKIP_1) | instid1(VALU_DEP_3)
	v_lshlrev_b32_e32 v18, v18, v17
	s_wait_alu 0xf1ff
	v_cndmask_b32_e64 v6, v26, v6, s0
	s_delay_alu instid0(VALU_DEP_3) | instskip(NEXT) | instid1(VALU_DEP_3)
	v_cmp_lt_i32_e64 s0, 5, v16
	v_cmp_ne_u32_e64 s1, v18, v28
	s_delay_alu instid0(VALU_DEP_3)
	v_and_or_b32 v15, 0x8000, v7, v6
	v_lshrrev_b32_e32 v7, 2, v10
	v_add_nc_u32_e32 v18, 0xfffffc10, v22
	s_wait_alu 0xf1ff
	v_cndmask_b32_e64 v6, 0, 1, s1
	v_cmp_eq_u32_e64 s1, 3, v16
	s_delay_alu instid0(VALU_DEP_3) | instskip(NEXT) | instid1(VALU_DEP_3)
	v_lshl_or_b32 v10, v18, 12, v8
	v_or_b32_e32 v6, v17, v6
	s_delay_alu instid0(VALU_DEP_3)
	s_or_b32 s0, s1, s0
	v_lshrrev_b32_e32 v17, 16, v11
	s_wait_alu 0xfffe
	v_add_co_ci_u32_e64 v16, s0, 0, v7, s0
	v_cmp_ne_u32_e64 s0, 0, v4
	v_and_or_b32 v2, 0x1ff, v3, v2
	v_lshrrev_b32_e32 v22, 8, v3
	v_bfe_u32 v26, v3, 20, 11
	v_lshrrev_b32_e32 v3, 16, v3
	s_wait_alu 0xf1ff
	v_cndmask_b32_e64 v4, 0, 1, s0
	v_cmp_gt_i32_e64 s0, 1, v18
	s_delay_alu instid0(VALU_DEP_2) | instskip(SKIP_1) | instid1(VALU_DEP_2)
	v_lshl_or_b32 v4, v4, 9, 0x7c00
	s_wait_alu 0xf1ff
	v_cndmask_b32_e64 v10, v10, v6, s0
	v_cmp_gt_i32_e64 s0, 31, v19
	v_mul_f64_e32 v[6:7], s[8:9], v[12:13]
	v_mul_f16_e32 v13, v81, v17
	s_wait_alu 0xf1ff
	s_delay_alu instid0(VALU_DEP_3) | instskip(SKIP_1) | instid1(VALU_DEP_3)
	v_cndmask_b32_e64 v12, 0x7c00, v16, s0
	v_cmp_ne_u32_e64 s0, 0, v2
	v_fmac_f16_e32 v13, v80, v11
	v_and_b32_e32 v16, 7, v10
	v_lshrrev_b32_e32 v10, 2, v10
	s_wait_alu 0xf1ff
	v_cndmask_b32_e64 v2, 0, 1, s0
	v_cmp_eq_u32_e64 s0, 0x40f, v19
	v_cmp_eq_u32_e64 s1, 3, v16
	v_sub_nc_u32_e32 v19, 0x3f1, v26
	s_delay_alu instid0(VALU_DEP_4)
	v_and_or_b32 v2, 0xffe, v22, v2
	s_wait_alu 0xf1ff
	v_cndmask_b32_e64 v4, v12, v4, s0
	v_cvt_f32_f16_e32 v12, v13
	v_cmp_lt_i32_e64 s0, 5, v16
	v_med3_i32 v19, v19, 0, 13
	v_or_b32_e32 v16, 0x1000, v2
	v_and_or_b32 v27, 0x8000, v5, v4
	v_cvt_f64_f32_e32 v[12:13], v12
	s_or_b32 s0, s1, s0
	v_mul_f16_e32 v4, v81, v11
	s_wait_alu 0xfffe
	v_add_co_ci_u32_e64 v10, s0, 0, v10, s0
	v_cmp_ne_u32_e64 s0, 0, v8
	v_lshrrev_b32_e32 v22, v19, v16
	v_fma_f16 v4, v80, v17, -v4
	s_wait_alu 0xf1ff
	s_delay_alu instid0(VALU_DEP_3)
	v_cndmask_b32_e64 v8, 0, 1, s0
	v_cmp_gt_i32_e64 s0, 31, v18
	v_lshlrev_b32_e32 v5, v19, v22
	v_cvt_f32_f16_e32 v4, v4
	v_lshrrev_b32_e32 v19, 16, v9
	v_lshl_or_b32 v8, v8, 9, 0x7c00
	s_wait_alu 0xf1ff
	v_cndmask_b32_e64 v10, 0x7c00, v10, s0
	v_cmp_eq_u32_e64 s0, 0x40f, v18
	v_and_or_b32 v6, 0x1ff, v7, v6
	v_lshrrev_b32_e32 v9, 8, v7
	v_bfe_u32 v17, v7, 20, 11
	s_wait_alu 0xf1ff
	v_cndmask_b32_e64 v18, v10, v8, s0
	v_cmp_ne_u32_e64 s0, v5, v16
	v_add_nc_u32_e32 v16, 0xfffffc10, v26
	v_cvt_f64_f32_e32 v[4:5], v4
	s_wait_alu 0xf1ff
	s_delay_alu instid0(VALU_DEP_3) | instskip(SKIP_2) | instid1(VALU_DEP_3)
	v_cndmask_b32_e64 v8, 0, 1, s0
	v_cmp_ne_u32_e64 s0, 0, v6
	v_lshl_or_b32 v11, v16, 12, v2
	v_or_b32_e32 v10, v22, v8
	s_wait_alu 0xf1ff
	s_delay_alu instid0(VALU_DEP_3) | instskip(SKIP_3) | instid1(VALU_DEP_4)
	v_cndmask_b32_e64 v6, 0, 1, s0
	v_cmp_gt_i32_e64 s0, 1, v16
	v_sub_nc_u32_e32 v22, 0x3f1, v17
	v_add_nc_u32_e32 v17, 0xfffffc10, v17
	v_and_or_b32 v6, 0xffe, v9, v6
	ds_load_2addr_b32 v[8:9], v25 offset0:62 offset1:209
	s_wait_alu 0xf1ff
	v_cndmask_b32_e64 v25, v11, v10, s0
	v_mul_f64_e32 v[10:11], s[8:9], v[12:13]
	v_med3_i32 v13, v22, 0, 13
	v_or_b32_e32 v12, 0x1000, v6
	v_lshl_or_b32 v22, v15, 16, v14
	v_and_or_b32 v14, 0x8000, v19, v18
	v_and_b32_e32 v18, 7, v25
	v_and_b32_e32 v15, 0xffff, v27
	v_lshrrev_b32_e32 v19, v13, v12
	v_add_co_u32 v0, s0, v0, s6
	s_wait_alu 0xf1ff
	v_add_co_ci_u32_e64 v1, s0, s7, v1, s0
	s_delay_alu instid0(VALU_DEP_3)
	v_lshlrev_b32_e32 v13, v13, v19
	v_cmp_lt_i32_e64 s0, 5, v18
	v_cmp_eq_u32_e64 s1, 3, v18
	v_lshl_or_b32 v26, v14, 16, v15
	v_lshrrev_b32_e32 v14, 2, v25
	v_cmp_ne_u32_e64 s2, v13, v12
	s_wait_dscnt 0x0
	v_lshrrev_b32_e32 v18, 16, v8
	s_or_b32 s0, s1, s0
	v_lshl_or_b32 v15, v17, 12, v6
	s_wait_alu 0xfffe
	v_add_co_ci_u32_e64 v14, s0, 0, v14, s0
	v_cndmask_b32_e64 v12, 0, 1, s2
	v_mul_f16_e32 v13, v79, v18
	v_cmp_ne_u32_e64 s0, 0, v2
	v_mul_f64_e32 v[4:5], s[8:9], v[4:5]
	s_delay_alu instid0(VALU_DEP_4) | instskip(NEXT) | instid1(VALU_DEP_4)
	v_or_b32_e32 v12, v19, v12
	v_fmac_f16_e32 v13, v78, v8
	s_wait_alu 0xf1ff
	v_cndmask_b32_e64 v2, 0, 1, s0
	v_cmp_gt_i32_e64 s0, 1, v17
	s_delay_alu instid0(VALU_DEP_2) | instskip(SKIP_1) | instid1(VALU_DEP_2)
	v_lshl_or_b32 v2, v2, 9, 0x7c00
	s_wait_alu 0xf1ff
	v_cndmask_b32_e64 v19, v15, v12, s0
	v_cvt_f32_f16_e32 v12, v13
	v_cmp_gt_i32_e64 s0, 31, v16
	v_and_or_b32 v10, 0x1ff, v11, v10
	s_delay_alu instid0(VALU_DEP_4) | instskip(NEXT) | instid1(VALU_DEP_4)
	v_and_b32_e32 v27, 7, v19
	v_cvt_f64_f32_e32 v[12:13], v12
	s_wait_alu 0xf1ff
	v_cndmask_b32_e64 v25, 0x7c00, v14, s0
	v_add_co_u32 v14, s0, v0, s6
	s_wait_alu 0xf1ff
	v_add_co_ci_u32_e64 v15, s0, s7, v1, s0
	v_cmp_eq_u32_e64 s0, 0x40f, v16
	v_cmp_ne_u32_e64 s1, 0, v10
	v_lshrrev_b32_e32 v19, 2, v19
	v_lshrrev_b32_e32 v16, 8, v11
	global_store_b32 v[0:1], v22, off
	global_store_b32 v[14:15], v26, off
	s_wait_alu 0xf1ff
	v_cndmask_b32_e64 v2, v25, v2, s0
	v_cmp_lt_i32_e64 s0, 5, v27
	v_cndmask_b32_e64 v10, 0, 1, s1
	v_cmp_eq_u32_e64 s1, 3, v27
	v_bfe_u32 v25, v11, 20, 11
	v_and_or_b32 v28, 0x8000, v3, v2
	v_lshrrev_b32_e32 v11, 16, v11
	v_and_or_b32 v10, 0xffe, v16, v10
	s_or_b32 s0, s1, s0
	v_sub_nc_u32_e32 v16, 0x3f1, v25
	s_wait_alu 0xfffe
	v_add_co_ci_u32_e64 v19, s0, 0, v19, s0
	v_cmp_ne_u32_e64 s0, 0, v6
	v_or_b32_e32 v27, 0x1000, v10
	v_med3_i32 v16, v16, 0, 13
	v_and_or_b32 v2, 0x1ff, v5, v4
	s_wait_alu 0xf1ff
	v_cndmask_b32_e64 v6, 0, 1, s0
	v_cmp_gt_i32_e64 s0, 31, v17
	v_lshrrev_b32_e32 v29, v16, v27
	s_delay_alu instid0(VALU_DEP_3) | instskip(SKIP_1) | instid1(VALU_DEP_3)
	v_lshl_or_b32 v6, v6, 9, 0x7c00
	s_wait_alu 0xf1ff
	v_cndmask_b32_e64 v19, 0x7c00, v19, s0
	v_cmp_eq_u32_e64 s0, 0x40f, v17
	v_lshrrev_b32_e32 v17, 16, v7
	v_mul_f16_e32 v7, v79, v8
	s_wait_alu 0xf1ff
	s_delay_alu instid0(VALU_DEP_3)
	v_cndmask_b32_e64 v4, v19, v6, s0
	v_cmp_ne_u32_e64 s0, 0, v2
	v_lshlrev_b32_e32 v6, v16, v29
	v_lshrrev_b32_e32 v16, 8, v5
	v_bfe_u32 v19, v5, 20, 11
	v_mul_f64_e32 v[2:3], s[8:9], v[12:13]
	s_wait_alu 0xf1ff
	v_cndmask_b32_e64 v8, 0, 1, s0
	v_fma_f16 v7, v78, v18, -v7
	v_cmp_ne_u32_e64 s0, v6, v27
	v_sub_nc_u32_e32 v12, 0x3f1, v19
	v_add_nc_u32_e32 v18, 0xfffffc10, v25
	v_and_or_b32 v8, 0xffe, v16, v8
	v_cvt_f32_f16_e32 v7, v7
	s_wait_alu 0xf1ff
	v_cndmask_b32_e64 v6, 0, 1, s0
	v_med3_i32 v12, v12, 0, 13
	v_lshl_or_b32 v16, v18, 12, v10
	v_or_b32_e32 v25, 0x1000, v8
	v_cmp_gt_i32_e64 s0, 1, v18
	v_or_b32_e32 v13, v29, v6
	v_cvt_f64_f32_e32 v[6:7], v7
	v_and_or_b32 v4, 0x8000, v17, v4
	v_lshrrev_b32_e32 v27, v12, v25
	v_and_b32_e32 v17, 0xffff, v28
	s_wait_alu 0xf1ff
	v_cndmask_b32_e64 v16, v16, v13, s0
	v_cmp_eq_u32_e64 s2, 0x40f, v18
	v_lshrrev_b32_e32 v5, 16, v5
	v_lshlrev_b32_e32 v1, v12, v27
	v_add_co_u32 v12, s0, v14, s6
	v_and_b32_e32 v0, 7, v16
	v_lshl_or_b32 v17, v4, 16, v17
	s_delay_alu instid0(VALU_DEP_4)
	v_cmp_ne_u32_e64 s1, v1, v25
	v_lshrrev_b32_e32 v4, 16, v9
	s_wait_alu 0xf1ff
	v_add_co_ci_u32_e64 v13, s0, s7, v15, s0
	v_cmp_lt_i32_e64 s0, 5, v0
	v_cndmask_b32_e64 v1, 0, 1, s1
	v_cmp_eq_u32_e64 s1, 3, v0
	v_lshrrev_b32_e32 v0, 2, v16
	v_add_nc_u32_e32 v14, 0xfffffc10, v19
	v_mul_f16_e32 v15, v77, v4
	v_or_b32_e32 v1, v27, v1
	s_or_b32 s0, s1, s0
	v_and_or_b32 v2, 0x1ff, v3, v2
	s_wait_alu 0xfffe
	v_add_co_ci_u32_e64 v19, s0, 0, v0, s0
	v_lshl_or_b32 v16, v14, 12, v8
	v_fmac_f16_e32 v15, v75, v9
	v_cmp_gt_i32_e64 s0, 1, v14
	v_bfe_u32 v22, v3, 20, 11
	v_mul_f16_e32 v9, v77, v9
	s_delay_alu instid0(VALU_DEP_4)
	v_cvt_f32_f16_e32 v0, v15
	s_wait_alu 0xf1ff
	v_cndmask_b32_e64 v15, v16, v1, s0
	v_cmp_ne_u32_e64 s0, 0, v2
	v_lshrrev_b32_e32 v16, 8, v3
	v_fma_f16 v4, v75, v4, -v9
	v_cvt_f64_f32_e32 v[0:1], v0
	v_mul_f64_e32 v[6:7], s[8:9], v[6:7]
	s_wait_alu 0xf1ff
	v_cndmask_b32_e64 v2, 0, 1, s0
	v_cmp_ne_u32_e64 s0, 0, v10
	v_and_b32_e32 v25, 7, v15
	v_lshrrev_b32_e32 v15, 2, v15
	v_cvt_f32_f16_e32 v4, v4
	v_and_or_b32 v2, 0xffe, v16, v2
	s_wait_alu 0xf1ff
	v_cndmask_b32_e64 v10, 0, 1, s0
	v_cmp_gt_i32_e64 s0, 31, v18
	v_sub_nc_u32_e32 v16, 0x3f1, v22
	v_cmp_eq_u32_e64 s1, 3, v25
	v_or_b32_e32 v26, 0x1000, v2
	v_lshl_or_b32 v10, v10, 9, 0x7c00
	s_wait_alu 0xf1ff
	v_cndmask_b32_e64 v19, 0x7c00, v19, s0
	v_cmp_lt_i32_e64 s0, 5, v25
	v_med3_i32 v16, v16, 0, 13
	s_delay_alu instid0(VALU_DEP_3) | instskip(NEXT) | instid1(VALU_DEP_3)
	v_cndmask_b32_e64 v10, v19, v10, s2
	s_or_b32 s0, s1, s0
	s_delay_alu instid0(VALU_DEP_2)
	v_lshrrev_b32_e32 v18, v16, v26
	s_wait_alu 0xfffe
	v_add_co_ci_u32_e64 v15, s0, 0, v15, s0
	v_cmp_ne_u32_e64 s0, 0, v8
	v_and_or_b32 v10, 0x8000, v11, v10
	v_lshlrev_b32_e32 v16, v16, v18
	s_wait_alu 0xf1ff
	s_delay_alu instid0(VALU_DEP_3) | instskip(SKIP_2) | instid1(VALU_DEP_3)
	v_cndmask_b32_e64 v8, 0, 1, s0
	v_cmp_gt_i32_e64 s0, 31, v14
	v_and_b32_e32 v10, 0xffff, v10
	v_lshl_or_b32 v8, v8, 9, 0x7c00
	s_wait_alu 0xf1ff
	s_delay_alu instid0(VALU_DEP_3) | instskip(SKIP_4) | instid1(VALU_DEP_3)
	v_cndmask_b32_e64 v15, 0x7c00, v15, s0
	v_cmp_ne_u32_e64 s0, v16, v26
	v_mul_f64_e32 v[0:1], s[8:9], v[0:1]
	v_and_or_b32 v6, 0x1ff, v7, v6
	s_wait_alu 0xf1ff
	v_cndmask_b32_e64 v11, 0, 1, s0
	v_cmp_eq_u32_e64 s0, 0x40f, v14
	v_add_nc_u32_e32 v14, 0xfffffc10, v22
	s_delay_alu instid0(VALU_DEP_3) | instskip(SKIP_1) | instid1(VALU_DEP_3)
	v_or_b32_e32 v11, v18, v11
	s_wait_alu 0xf1ff
	v_cndmask_b32_e64 v8, v15, v8, s0
	ds_load_b32 v15, v73 offset:7056
	v_lshl_or_b32 v16, v14, 12, v2
	v_cmp_gt_i32_e64 s0, 1, v14
	v_and_or_b32 v8, 0x8000, v5, v8
	v_cvt_f64_f32_e32 v[4:5], v4
	s_wait_alu 0xf1ff
	s_delay_alu instid0(VALU_DEP_3) | instskip(SKIP_3) | instid1(VALU_DEP_4)
	v_cndmask_b32_e64 v9, v16, v11, s0
	v_cmp_ne_u32_e64 s0, 0, v6
	v_lshrrev_b32_e32 v11, 8, v7
	v_bfe_u32 v16, v7, 20, 11
	v_and_b32_e32 v18, 7, v9
	s_wait_alu 0xf1ff
	v_cndmask_b32_e64 v6, 0, 1, s0
	s_delay_alu instid0(VALU_DEP_2) | instskip(NEXT) | instid1(VALU_DEP_2)
	v_cmp_lt_i32_e64 s0, 5, v18
	v_and_or_b32 v6, 0xffe, v11, v6
	v_sub_nc_u32_e32 v11, 0x3f1, v16
	s_wait_dscnt 0x0
	v_lshrrev_b32_e32 v19, 16, v15
	v_cmp_eq_u32_e64 s1, 3, v18
	v_lshl_or_b32 v18, v8, 16, v10
	v_lshrrev_b32_e32 v8, 2, v9
	v_or_b32_e32 v22, 0x1000, v6
	v_med3_i32 v11, v11, 0, 13
	v_mul_f16_e32 v25, v76, v19
	s_or_b32 s0, s1, s0
	v_and_or_b32 v0, 0x1ff, v1, v0
	s_wait_alu 0xfffe
	v_add_co_ci_u32_e64 v8, s0, 0, v8, s0
	v_lshrrev_b32_e32 v10, v11, v22
	v_fmac_f16_e32 v25, v74, v15
	v_cmp_ne_u32_e64 s0, 0, v2
	v_add_nc_u32_e32 v16, 0xfffffc10, v16
	v_mul_f16_e32 v15, v76, v15
	v_lshlrev_b32_e32 v11, v11, v10
	v_cvt_f32_f16_e32 v9, v25
	s_wait_alu 0xf1ff
	v_cndmask_b32_e64 v2, 0, 1, s0
	v_cmp_gt_i32_e64 s0, 31, v14
	v_bfe_u32 v26, v1, 20, 11
	v_mul_f64_e32 v[4:5], s[8:9], v[4:5]
	s_wait_alu 0xf1ff
	s_delay_alu instid0(VALU_DEP_3)
	v_cndmask_b32_e64 v25, 0x7c00, v8, s0
	v_cvt_f64_f32_e32 v[8:9], v9
	v_cmp_ne_u32_e64 s0, v11, v22
	v_lshrrev_b32_e32 v22, 8, v1
	v_lshl_or_b32 v2, v2, 9, 0x7c00
	v_lshrrev_b32_e32 v1, 16, v1
	s_wait_alu 0xf1ff
	v_cndmask_b32_e64 v11, 0, 1, s0
	v_cmp_ne_u32_e64 s0, 0, v0
	s_delay_alu instid0(VALU_DEP_2) | instskip(SKIP_1) | instid1(VALU_DEP_2)
	v_or_b32_e32 v10, v10, v11
	s_wait_alu 0xf1ff
	v_cndmask_b32_e64 v0, 0, 1, s0
	v_fma_f16 v11, v74, v19, -v15
	v_lshl_or_b32 v15, v16, 12, v6
	v_cmp_gt_i32_e64 s0, 1, v16
	v_sub_nc_u32_e32 v19, 0x3f1, v26
	v_and_or_b32 v0, 0xffe, v22, v0
	v_cvt_f32_f16_e32 v11, v11
	s_wait_alu 0xf1ff
	v_cndmask_b32_e64 v15, v15, v10, s0
	v_cmp_eq_u32_e64 s0, 0x40f, v14
	v_or_b32_e32 v22, 0x1000, v0
	v_med3_i32 v19, v19, 0, 13
	v_cvt_f64_f32_e32 v[10:11], v11
	v_and_b32_e32 v27, 7, v15
	s_wait_alu 0xf1ff
	v_cndmask_b32_e64 v14, v25, v2, s0
	v_add_co_u32 v2, s0, v12, s6
	v_lshrrev_b32_e32 v28, v19, v22
	v_lshrrev_b32_e32 v25, 16, v3
	s_wait_alu 0xf1ff
	v_add_co_ci_u32_e64 v3, s0, s7, v13, s0
	v_cmp_lt_i32_e64 s0, 5, v27
	v_cmp_eq_u32_e64 s1, 3, v27
	v_lshrrev_b32_e32 v15, 2, v15
	v_lshlrev_b32_e32 v19, v19, v28
	v_and_or_b32 v14, 0x8000, v25, v14
	v_mul_f64_e32 v[8:9], s[8:9], v[8:9]
	s_or_b32 s0, s1, s0
	v_and_or_b32 v4, 0x1ff, v5, v4
	s_wait_alu 0xfffe
	v_add_co_ci_u32_e64 v15, s0, 0, v15, s0
	v_cmp_ne_u32_e64 s2, v19, v22
	v_cmp_ne_u32_e64 s0, 0, v6
	v_add_nc_u32_e32 v22, 0xfffffc10, v26
	v_and_b32_e32 v14, 0xffff, v14
	v_lshrrev_b32_e32 v26, 8, v5
	s_wait_alu 0xf1ff
	v_cndmask_b32_e64 v19, 0, 1, s2
	v_cndmask_b32_e64 v6, 0, 1, s0
	v_cmp_gt_i32_e64 s0, 31, v16
	v_lshl_or_b32 v25, v22, 12, v0
	s_delay_alu instid0(VALU_DEP_4) | instskip(NEXT) | instid1(VALU_DEP_4)
	v_or_b32_e32 v19, v28, v19
	v_lshl_or_b32 v6, v6, 9, 0x7c00
	s_wait_alu 0xf1ff
	v_cndmask_b32_e64 v15, 0x7c00, v15, s0
	v_cmp_gt_i32_e64 s0, 1, v22
	s_wait_alu 0xf1ff
	s_delay_alu instid0(VALU_DEP_1) | instskip(SKIP_2) | instid1(VALU_DEP_3)
	v_cndmask_b32_e64 v19, v25, v19, s0
	v_cmp_eq_u32_e64 s0, 0x40f, v16
	v_lshrrev_b32_e32 v16, 16, v7
	v_and_b32_e32 v25, 7, v19
	s_wait_alu 0xf1ff
	s_delay_alu instid0(VALU_DEP_3)
	v_cndmask_b32_e64 v15, v15, v6, s0
	v_cmp_ne_u32_e64 s0, 0, v4
	v_mul_f64_e32 v[6:7], s[8:9], v[10:11]
	v_bfe_u32 v10, v5, 20, 11
	v_cmp_eq_u32_e64 s1, 3, v25
	v_and_or_b32 v11, 0x8000, v16, v15
	s_wait_alu 0xf1ff
	v_cndmask_b32_e64 v4, 0, 1, s0
	v_cmp_lt_i32_e64 s0, 5, v25
	v_sub_nc_u32_e32 v15, 0x3f1, v10
	v_and_or_b32 v8, 0x1ff, v9, v8
	v_lshl_or_b32 v11, v11, 16, v14
	v_lshrrev_b32_e32 v14, 2, v19
	v_and_or_b32 v4, 0xffe, v26, v4
	s_or_b32 s0, s1, s0
	v_med3_i32 v15, v15, 0, 13
	v_lshrrev_b32_e32 v25, 8, v9
	s_wait_alu 0xfffe
	v_add_co_ci_u32_e64 v14, s0, 0, v14, s0
	v_or_b32_e32 v16, 0x1000, v4
	v_cmp_ne_u32_e64 s0, 0, v0
	v_bfe_u32 v26, v9, 20, 11
	v_add_nc_u32_e32 v10, 0xfffffc10, v10
	v_lshrrev_b32_e32 v5, 16, v5
	v_lshrrev_b32_e32 v19, v15, v16
	s_wait_alu 0xf1ff
	v_cndmask_b32_e64 v0, 0, 1, s0
	v_cmp_gt_i32_e64 s0, 31, v22
	v_lshrrev_b32_e32 v9, 16, v9
	v_lshlrev_b32_e32 v15, v15, v19
	s_delay_alu instid0(VALU_DEP_4) | instskip(SKIP_4) | instid1(VALU_DEP_1)
	v_lshl_or_b32 v0, v0, 9, 0x7c00
	s_wait_alu 0xf1ff
	v_cndmask_b32_e64 v14, 0x7c00, v14, s0
	v_cmp_ne_u32_e64 s0, 0, v8
	s_wait_alu 0xf1ff
	v_cndmask_b32_e64 v8, 0, 1, s0
	v_cmp_ne_u32_e64 s0, v15, v16
	v_sub_nc_u32_e32 v16, 0x3f1, v26
	v_and_or_b32 v6, 0x1ff, v7, v6
	s_delay_alu instid0(VALU_DEP_4)
	v_and_or_b32 v8, 0xffe, v25, v8
	s_wait_alu 0xf1ff
	v_cndmask_b32_e64 v15, 0, 1, s0
	v_cmp_eq_u32_e64 s0, 0x40f, v22
	v_med3_i32 v16, v16, 0, 13
	v_lshrrev_b32_e32 v22, 8, v7
	v_bfe_u32 v25, v7, 20, 11
	s_wait_alu 0xf1ff
	v_cndmask_b32_e64 v0, v14, v0, s0
	v_or_b32_e32 v14, v19, v15
	v_lshl_or_b32 v15, v10, 12, v4
	v_or_b32_e32 v19, 0x1000, v8
	v_cmp_gt_i32_e64 s0, 1, v10
	v_and_or_b32 v0, 0x8000, v1, v0
	s_wait_alu 0xf1ff
	s_delay_alu instid0(VALU_DEP_2) | instskip(SKIP_3) | instid1(VALU_DEP_4)
	v_cndmask_b32_e64 v14, v15, v14, s0
	v_lshrrev_b32_e32 v15, v16, v19
	v_cmp_ne_u32_e64 s0, 0, v6
	v_and_b32_e32 v0, 0xffff, v0
	v_and_b32_e32 v27, 7, v14
	s_delay_alu instid0(VALU_DEP_4)
	v_lshlrev_b32_e32 v16, v16, v15
	s_wait_alu 0xf1ff
	v_cndmask_b32_e64 v6, 0, 1, s0
	v_lshrrev_b32_e32 v14, 2, v14
	v_cmp_lt_i32_e64 s0, 5, v27
	v_cmp_ne_u32_e64 s1, v16, v19
	s_delay_alu instid0(VALU_DEP_4)
	v_and_or_b32 v1, 0xffe, v22, v6
	v_sub_nc_u32_e32 v6, 0x3f1, v25
	v_add_nc_u32_e32 v22, 0xfffffc10, v26
	s_wait_alu 0xf1ff
	v_cndmask_b32_e64 v16, 0, 1, s1
	v_cmp_eq_u32_e64 s1, 3, v27
	v_or_b32_e32 v19, 0x1000, v1
	v_med3_i32 v6, v6, 0, 13
	v_lshl_or_b32 v26, v22, 12, v8
	v_or_b32_e32 v15, v15, v16
	s_or_b32 s0, s1, s0
	s_wait_alu 0xfffe
	v_add_co_ci_u32_e64 v14, s0, 0, v14, s0
	v_lshrrev_b32_e32 v16, v6, v19
	v_cmp_gt_i32_e64 s0, 1, v22
	s_delay_alu instid0(VALU_DEP_2) | instskip(SKIP_1) | instid1(VALU_DEP_2)
	v_lshlrev_b32_e32 v6, v6, v16
	s_wait_alu 0xf1ff
	v_cndmask_b32_e64 v15, v26, v15, s0
	v_cmp_ne_u32_e64 s0, 0, v4
	s_wait_alu 0xf1ff
	s_delay_alu instid0(VALU_DEP_1) | instskip(SKIP_3) | instid1(VALU_DEP_4)
	v_cndmask_b32_e64 v4, 0, 1, s0
	v_cmp_ne_u32_e64 s0, v6, v19
	v_add_nc_u32_e32 v19, 0xfffffc10, v25
	v_and_b32_e32 v25, 7, v15
	v_lshl_or_b32 v4, v4, 9, 0x7c00
	s_wait_alu 0xf1ff
	v_cndmask_b32_e64 v6, 0, 1, s0
	v_cmp_gt_i32_e64 s0, 31, v10
	v_cmp_gt_i32_e64 s2, 1, v19
	v_cmp_eq_u32_e64 s1, 3, v25
	s_delay_alu instid0(VALU_DEP_4) | instskip(SKIP_4) | instid1(VALU_DEP_3)
	v_or_b32_e32 v6, v16, v6
	v_lshl_or_b32 v16, v19, 12, v1
	s_wait_alu 0xf1ff
	v_cndmask_b32_e64 v14, 0x7c00, v14, s0
	v_cmp_lt_i32_e64 s0, 5, v25
	v_cndmask_b32_e64 v6, v16, v6, s2
	v_cmp_eq_u32_e64 s2, 0x40f, v10
	v_lshrrev_b32_e32 v10, 2, v15
	s_delay_alu instid0(VALU_DEP_4) | instskip(NEXT) | instid1(VALU_DEP_2)
	s_or_b32 s0, s1, s0
	v_cndmask_b32_e64 v4, v14, v4, s2
	s_wait_alu 0xfffe
	s_delay_alu instid0(VALU_DEP_2) | instskip(SKIP_4) | instid1(VALU_DEP_4)
	v_add_co_ci_u32_e64 v10, s0, 0, v10, s0
	v_and_b32_e32 v14, 7, v6
	v_cmp_ne_u32_e64 s0, 0, v8
	v_lshrrev_b32_e32 v6, 2, v6
	v_cmp_gt_i32_e64 s2, 31, v22
	v_cmp_eq_u32_e64 s1, 3, v14
	s_wait_alu 0xf1ff
	v_cndmask_b32_e64 v8, 0, 1, s0
	v_cmp_lt_i32_e64 s0, 5, v14
	v_cndmask_b32_e64 v10, 0x7c00, v10, s2
	s_delay_alu instid0(VALU_DEP_3) | instskip(NEXT) | instid1(VALU_DEP_3)
	v_lshl_or_b32 v8, v8, 9, 0x7c00
	s_or_b32 s0, s1, s0
	s_wait_alu 0xfffe
	v_add_co_ci_u32_e64 v6, s0, 0, v6, s0
	v_cmp_ne_u32_e64 s0, 0, v1
	s_wait_alu 0xf1ff
	s_delay_alu instid0(VALU_DEP_1) | instskip(SKIP_1) | instid1(VALU_DEP_2)
	v_cndmask_b32_e64 v1, 0, 1, s0
	v_cmp_eq_u32_e64 s0, 0x40f, v22
	v_lshl_or_b32 v1, v1, 9, 0x7c00
	s_wait_alu 0xf1ff
	s_delay_alu instid0(VALU_DEP_2) | instskip(SKIP_2) | instid1(VALU_DEP_3)
	v_cndmask_b32_e64 v8, v10, v8, s0
	v_cmp_gt_i32_e64 s0, 31, v19
	v_and_or_b32 v10, 0x8000, v5, v4
	v_and_or_b32 v8, 0x8000, v9, v8
	s_wait_alu 0xf1ff
	s_delay_alu instid0(VALU_DEP_3) | instskip(SKIP_3) | instid1(VALU_DEP_2)
	v_cndmask_b32_e64 v6, 0x7c00, v6, s0
	v_cmp_eq_u32_e64 s0, 0x40f, v19
	v_lshl_or_b32 v9, v10, 16, v0
	s_wait_alu 0xf1ff
	v_cndmask_b32_e64 v1, v6, v1, s0
	v_lshrrev_b32_e32 v6, 16, v7
	v_add_co_u32 v4, s0, v2, s6
	s_wait_alu 0xf1ff
	v_add_co_ci_u32_e64 v5, s0, s7, v3, s0
	s_delay_alu instid0(VALU_DEP_3) | instskip(SKIP_4) | instid1(VALU_DEP_3)
	v_and_or_b32 v0, 0x8000, v6, v1
	v_and_b32_e32 v1, 0xffff, v8
	v_add_co_u32 v6, s0, v4, s6
	s_wait_alu 0xf1ff
	v_add_co_ci_u32_e64 v7, s0, s7, v5, s0
	v_lshl_or_b32 v8, v0, 16, v1
	s_delay_alu instid0(VALU_DEP_3) | instskip(SKIP_1) | instid1(VALU_DEP_3)
	v_add_co_u32 v0, s0, v6, s6
	s_wait_alu 0xf1ff
	v_add_co_ci_u32_e64 v1, s0, s7, v7, s0
	global_store_b32 v[12:13], v17, off
	global_store_b32 v[2:3], v18, off
	;; [unrolled: 1-line block ×5, first 2 shown]
	s_and_b32 exec_lo, exec_lo, vcc_lo
	s_cbranch_execz .LBB0_15
; %bb.14:
	global_load_b32 v4, v[20:21], off offset:364
	ds_load_2addr_b32 v[2:3], v73 offset0:91 offset1:238
	v_mad_co_u64_u32 v[0:1], null, 0xffffe5dc, s4, v[0:1]
	s_wait_dscnt 0x0
	v_lshrrev_b32_e32 v5, 16, v2
	s_wait_loadcnt 0x0
	v_lshrrev_b32_e32 v6, 16, v4
	s_delay_alu instid0(VALU_DEP_1) | instskip(SKIP_1) | instid1(VALU_DEP_2)
	v_mul_f16_e32 v7, v5, v6
	v_mul_f16_e32 v6, v2, v6
	v_fmac_f16_e32 v7, v2, v4
	s_delay_alu instid0(VALU_DEP_2) | instskip(NEXT) | instid1(VALU_DEP_2)
	v_fma_f16 v2, v4, v5, -v6
	v_cvt_f32_f16_e32 v4, v7
	s_delay_alu instid0(VALU_DEP_2) | instskip(NEXT) | instid1(VALU_DEP_2)
	v_cvt_f32_f16_e32 v2, v2
	v_cvt_f64_f32_e32 v[4:5], v4
	s_delay_alu instid0(VALU_DEP_2) | instskip(NEXT) | instid1(VALU_DEP_2)
	v_cvt_f64_f32_e32 v[6:7], v2
	v_mul_f64_e32 v[4:5], s[8:9], v[4:5]
	s_delay_alu instid0(VALU_DEP_2) | instskip(NEXT) | instid1(VALU_DEP_2)
	v_mul_f64_e32 v[6:7], s[8:9], v[6:7]
	v_and_or_b32 v2, 0x1ff, v5, v4
	s_delay_alu instid0(VALU_DEP_2)
	v_and_or_b32 v6, 0x1ff, v7, v6
	v_lshrrev_b32_e32 v4, 8, v5
	v_bfe_u32 v8, v5, 20, 11
	v_lshrrev_b32_e32 v9, 8, v7
	v_cmp_ne_u32_e32 vcc_lo, 0, v2
	v_bfe_u32 v10, v7, 20, 11
	v_lshrrev_b32_e32 v5, 16, v5
	v_sub_nc_u32_e32 v11, 0x3f1, v8
	v_add_nc_u32_e32 v8, 0xfffffc10, v8
	s_wait_alu 0xfffd
	v_cndmask_b32_e64 v2, 0, 1, vcc_lo
	v_cmp_ne_u32_e32 vcc_lo, 0, v6
	v_lshrrev_b32_e32 v7, 16, v7
	s_delay_alu instid0(VALU_DEP_3) | instskip(SKIP_4) | instid1(VALU_DEP_3)
	v_and_or_b32 v2, 0xffe, v4, v2
	s_wait_alu 0xfffd
	v_cndmask_b32_e64 v6, 0, 1, vcc_lo
	v_sub_nc_u32_e32 v4, 0x3f1, v10
	v_add_nc_u32_e32 v10, 0xfffffc10, v10
	v_and_or_b32 v6, 0xffe, v9, v6
	v_med3_i32 v9, v11, 0, 13
	v_or_b32_e32 v11, 0x1000, v2
	v_med3_i32 v4, v4, 0, 13
	s_delay_alu instid0(VALU_DEP_4) | instskip(NEXT) | instid1(VALU_DEP_3)
	v_or_b32_e32 v12, 0x1000, v6
	v_lshrrev_b32_e32 v13, v9, v11
	s_delay_alu instid0(VALU_DEP_2) | instskip(NEXT) | instid1(VALU_DEP_2)
	v_lshrrev_b32_e32 v14, v4, v12
	v_lshlrev_b32_e32 v9, v9, v13
	s_delay_alu instid0(VALU_DEP_1) | instskip(SKIP_3) | instid1(VALU_DEP_1)
	v_cmp_ne_u32_e32 vcc_lo, v9, v11
	v_lshl_or_b32 v11, v8, 12, v2
	s_wait_alu 0xfffd
	v_cndmask_b32_e64 v9, 0, 1, vcc_lo
	v_or_b32_e32 v9, v13, v9
	v_lshlrev_b32_e32 v4, v4, v14
	s_delay_alu instid0(VALU_DEP_1) | instskip(SKIP_4) | instid1(VALU_DEP_2)
	v_cmp_ne_u32_e32 vcc_lo, v4, v12
	v_lshl_or_b32 v12, v10, 12, v6
	s_wait_alu 0xfffd
	v_cndmask_b32_e64 v4, 0, 1, vcc_lo
	v_cmp_gt_i32_e32 vcc_lo, 1, v8
	v_or_b32_e32 v4, v14, v4
	s_wait_alu 0xfffd
	v_cndmask_b32_e32 v9, v11, v9, vcc_lo
	v_cmp_gt_i32_e32 vcc_lo, 1, v10
	s_wait_alu 0xfffd
	s_delay_alu instid0(VALU_DEP_2) | instskip(SKIP_2) | instid1(VALU_DEP_3)
	v_dual_cndmask_b32 v4, v12, v4 :: v_dual_and_b32 v11, 7, v9
	v_cmp_ne_u32_e32 vcc_lo, 0, v2
	v_lshrrev_b32_e32 v9, 2, v9
	v_cmp_eq_u32_e64 s0, 3, v11
	s_wait_alu 0xfffd
	v_cndmask_b32_e64 v2, 0, 1, vcc_lo
	v_cmp_ne_u32_e32 vcc_lo, 0, v6
	s_delay_alu instid0(VALU_DEP_2) | instskip(SKIP_3) | instid1(VALU_DEP_2)
	v_lshl_or_b32 v2, v2, 9, 0x7c00
	s_wait_alu 0xfffd
	v_cndmask_b32_e64 v6, 0, 1, vcc_lo
	v_cmp_lt_i32_e32 vcc_lo, 5, v11
	v_lshl_or_b32 v6, v6, 9, 0x7c00
	s_or_b32 vcc_lo, s0, vcc_lo
	s_mul_i32 s0, s5, 0xffffe5dc
	s_wait_alu 0xfffe
	v_add_co_ci_u32_e32 v9, vcc_lo, 0, v9, vcc_lo
	v_and_b32_e32 v12, 7, v4
	v_lshrrev_b32_e32 v4, 2, v4
	s_sub_co_i32 s0, s0, s4
	s_wait_alu 0xfffe
	v_add_nc_u32_e32 v1, s0, v1
	v_cmp_lt_i32_e64 s1, 5, v12
	v_cmp_eq_u32_e64 s2, 3, v12
	s_delay_alu instid0(VALU_DEP_1)
	s_or_b32 vcc_lo, s2, s1
	s_wait_alu 0xfffe
	v_add_co_ci_u32_e32 v4, vcc_lo, 0, v4, vcc_lo
	v_cmp_gt_i32_e32 vcc_lo, 31, v8
	s_wait_alu 0xfffd
	v_cndmask_b32_e32 v9, 0x7c00, v9, vcc_lo
	v_cmp_gt_i32_e32 vcc_lo, 31, v10
	s_wait_alu 0xfffd
	v_cndmask_b32_e32 v4, 0x7c00, v4, vcc_lo
	v_cmp_eq_u32_e32 vcc_lo, 0x40f, v8
	s_wait_alu 0xfffd
	v_cndmask_b32_e32 v2, v9, v2, vcc_lo
	v_cmp_eq_u32_e32 vcc_lo, 0x40f, v10
	s_delay_alu instid0(VALU_DEP_2) | instskip(SKIP_2) | instid1(VALU_DEP_2)
	v_and_or_b32 v2, 0x8000, v5, v2
	s_wait_alu 0xfffd
	v_cndmask_b32_e32 v4, v4, v6, vcc_lo
	v_and_b32_e32 v2, 0xffff, v2
	s_delay_alu instid0(VALU_DEP_2) | instskip(NEXT) | instid1(VALU_DEP_1)
	v_and_or_b32 v4, 0x8000, v7, v4
	v_lshl_or_b32 v2, v4, 16, v2
	v_lshrrev_b32_e32 v4, 16, v3
	global_store_b32 v[0:1], v2, off
	global_load_b32 v2, v[20:21], off offset:952
	s_wait_loadcnt 0x0
	v_lshrrev_b32_e32 v5, 16, v2
	s_delay_alu instid0(VALU_DEP_1) | instskip(SKIP_1) | instid1(VALU_DEP_2)
	v_mul_f16_e32 v6, v4, v5
	v_mul_f16_e32 v5, v3, v5
	v_fmac_f16_e32 v6, v3, v2
	s_delay_alu instid0(VALU_DEP_2) | instskip(NEXT) | instid1(VALU_DEP_2)
	v_fma_f16 v2, v2, v4, -v5
	v_cvt_f32_f16_e32 v3, v6
	s_delay_alu instid0(VALU_DEP_2) | instskip(NEXT) | instid1(VALU_DEP_2)
	v_cvt_f32_f16_e32 v4, v2
	v_cvt_f64_f32_e32 v[2:3], v3
	s_delay_alu instid0(VALU_DEP_2) | instskip(NEXT) | instid1(VALU_DEP_2)
	v_cvt_f64_f32_e32 v[4:5], v4
	v_mul_f64_e32 v[2:3], s[8:9], v[2:3]
	s_delay_alu instid0(VALU_DEP_2) | instskip(NEXT) | instid1(VALU_DEP_2)
	v_mul_f64_e32 v[4:5], s[8:9], v[4:5]
	v_and_or_b32 v2, 0x1ff, v3, v2
	s_delay_alu instid0(VALU_DEP_2)
	v_and_or_b32 v4, 0x1ff, v5, v4
	v_lshrrev_b32_e32 v6, 8, v3
	v_bfe_u32 v7, v3, 20, 11
	v_lshrrev_b32_e32 v8, 8, v5
	v_cmp_ne_u32_e32 vcc_lo, 0, v2
	v_bfe_u32 v9, v5, 20, 11
	v_lshrrev_b32_e32 v3, 16, v3
	v_sub_nc_u32_e32 v10, 0x3f1, v7
	v_add_nc_u32_e32 v7, 0xfffffc10, v7
	s_wait_alu 0xfffd
	v_cndmask_b32_e64 v2, 0, 1, vcc_lo
	v_cmp_ne_u32_e32 vcc_lo, 0, v4
	v_lshrrev_b32_e32 v5, 16, v5
	s_delay_alu instid0(VALU_DEP_3) | instskip(SKIP_3) | instid1(VALU_DEP_2)
	v_and_or_b32 v2, 0xffe, v6, v2
	s_wait_alu 0xfffd
	v_cndmask_b32_e64 v4, 0, 1, vcc_lo
	v_sub_nc_u32_e32 v6, 0x3f1, v9
	v_and_or_b32 v4, 0xffe, v8, v4
	v_med3_i32 v8, v10, 0, 13
	v_or_b32_e32 v10, 0x1000, v2
	s_delay_alu instid0(VALU_DEP_4) | instskip(NEXT) | instid1(VALU_DEP_4)
	v_med3_i32 v6, v6, 0, 13
	v_or_b32_e32 v11, 0x1000, v4
	s_delay_alu instid0(VALU_DEP_3) | instskip(NEXT) | instid1(VALU_DEP_2)
	v_lshrrev_b32_e32 v12, v8, v10
	v_lshrrev_b32_e32 v13, v6, v11
	s_delay_alu instid0(VALU_DEP_2) | instskip(NEXT) | instid1(VALU_DEP_2)
	v_lshlrev_b32_e32 v8, v8, v12
	v_lshlrev_b32_e32 v6, v6, v13
	s_delay_alu instid0(VALU_DEP_2) | instskip(SKIP_4) | instid1(VALU_DEP_2)
	v_cmp_ne_u32_e32 vcc_lo, v8, v10
	v_lshl_or_b32 v10, v7, 12, v2
	s_wait_alu 0xfffd
	v_cndmask_b32_e64 v8, 0, 1, vcc_lo
	v_cmp_ne_u32_e32 vcc_lo, v6, v11
	v_or_b32_e32 v8, v12, v8
	s_wait_alu 0xfffd
	v_cndmask_b32_e64 v6, 0, 1, vcc_lo
	v_cmp_gt_i32_e32 vcc_lo, 1, v7
	v_add_nc_u32_e32 v9, 0xfffffc10, v9
	s_delay_alu instid0(VALU_DEP_3) | instskip(SKIP_2) | instid1(VALU_DEP_3)
	v_or_b32_e32 v6, v13, v6
	s_wait_alu 0xfffd
	v_cndmask_b32_e32 v8, v10, v8, vcc_lo
	v_lshl_or_b32 v11, v9, 12, v4
	v_cmp_gt_i32_e32 vcc_lo, 1, v9
	s_delay_alu instid0(VALU_DEP_3)
	v_and_b32_e32 v10, 7, v8
	v_lshrrev_b32_e32 v8, 2, v8
	s_wait_alu 0xfffd
	v_cndmask_b32_e32 v6, v11, v6, vcc_lo
	v_cmp_ne_u32_e32 vcc_lo, 0, v2
	v_cmp_eq_u32_e64 s0, 3, v10
	s_wait_alu 0xfffd
	v_cndmask_b32_e64 v2, 0, 1, vcc_lo
	v_cmp_ne_u32_e32 vcc_lo, 0, v4
	s_delay_alu instid0(VALU_DEP_2) | instskip(SKIP_3) | instid1(VALU_DEP_2)
	v_lshl_or_b32 v2, v2, 9, 0x7c00
	s_wait_alu 0xfffd
	v_cndmask_b32_e64 v4, 0, 1, vcc_lo
	v_cmp_lt_i32_e32 vcc_lo, 5, v10
	v_lshl_or_b32 v4, v4, 9, 0x7c00
	s_or_b32 vcc_lo, s0, vcc_lo
	s_wait_alu 0xfffe
	v_add_co_ci_u32_e32 v8, vcc_lo, 0, v8, vcc_lo
	v_and_b32_e32 v11, 7, v6
	v_lshrrev_b32_e32 v6, 2, v6
	s_delay_alu instid0(VALU_DEP_2) | instskip(SKIP_1) | instid1(VALU_DEP_1)
	v_cmp_lt_i32_e64 s1, 5, v11
	v_cmp_eq_u32_e64 s2, 3, v11
	s_or_b32 vcc_lo, s2, s1
	s_wait_alu 0xfffe
	v_add_co_ci_u32_e32 v6, vcc_lo, 0, v6, vcc_lo
	v_cmp_gt_i32_e32 vcc_lo, 31, v7
	s_wait_alu 0xfffd
	v_cndmask_b32_e32 v8, 0x7c00, v8, vcc_lo
	v_cmp_gt_i32_e32 vcc_lo, 31, v9
	s_wait_alu 0xfffd
	v_cndmask_b32_e32 v6, 0x7c00, v6, vcc_lo
	v_cmp_eq_u32_e32 vcc_lo, 0x40f, v7
	s_wait_alu 0xfffd
	v_cndmask_b32_e32 v2, v8, v2, vcc_lo
	v_cmp_eq_u32_e32 vcc_lo, 0x40f, v9
	s_delay_alu instid0(VALU_DEP_2)
	v_and_or_b32 v2, 0x8000, v3, v2
	s_wait_alu 0xfffd
	v_cndmask_b32_e32 v4, v6, v4, vcc_lo
	v_add_co_u32 v0, vcc_lo, v0, s6
	s_wait_alu 0xfffd
	v_add_co_ci_u32_e32 v1, vcc_lo, s7, v1, vcc_lo
	s_delay_alu instid0(VALU_DEP_3) | instskip(SKIP_1) | instid1(VALU_DEP_1)
	v_and_or_b32 v3, 0x8000, v5, v4
	v_and_b32_e32 v2, 0xffff, v2
	v_lshl_or_b32 v2, v3, 16, v2
	global_store_b32 v[0:1], v2, off
	global_load_b32 v4, v[20:21], off offset:1540
	v_add_nc_u32_e32 v2, 0x600, v73
	ds_load_2addr_b32 v[2:3], v2 offset0:1 offset1:148
	s_wait_dscnt 0x0
	v_lshrrev_b32_e32 v5, 16, v2
	s_wait_loadcnt 0x0
	v_lshrrev_b32_e32 v6, 16, v4
	s_delay_alu instid0(VALU_DEP_1) | instskip(SKIP_1) | instid1(VALU_DEP_2)
	v_mul_f16_e32 v7, v5, v6
	v_mul_f16_e32 v6, v2, v6
	v_fmac_f16_e32 v7, v2, v4
	s_delay_alu instid0(VALU_DEP_2) | instskip(NEXT) | instid1(VALU_DEP_2)
	v_fma_f16 v2, v4, v5, -v6
	v_cvt_f32_f16_e32 v4, v7
	s_delay_alu instid0(VALU_DEP_2) | instskip(NEXT) | instid1(VALU_DEP_2)
	v_cvt_f32_f16_e32 v2, v2
	v_cvt_f64_f32_e32 v[4:5], v4
	s_delay_alu instid0(VALU_DEP_2) | instskip(NEXT) | instid1(VALU_DEP_2)
	v_cvt_f64_f32_e32 v[6:7], v2
	v_mul_f64_e32 v[4:5], s[8:9], v[4:5]
	s_delay_alu instid0(VALU_DEP_2) | instskip(NEXT) | instid1(VALU_DEP_2)
	v_mul_f64_e32 v[6:7], s[8:9], v[6:7]
	v_and_or_b32 v2, 0x1ff, v5, v4
	s_delay_alu instid0(VALU_DEP_2)
	v_and_or_b32 v6, 0x1ff, v7, v6
	v_lshrrev_b32_e32 v4, 8, v5
	v_bfe_u32 v8, v5, 20, 11
	v_lshrrev_b32_e32 v9, 8, v7
	v_cmp_ne_u32_e32 vcc_lo, 0, v2
	v_bfe_u32 v10, v7, 20, 11
	v_lshrrev_b32_e32 v5, 16, v5
	v_sub_nc_u32_e32 v11, 0x3f1, v8
	v_add_nc_u32_e32 v8, 0xfffffc10, v8
	s_wait_alu 0xfffd
	v_cndmask_b32_e64 v2, 0, 1, vcc_lo
	v_cmp_ne_u32_e32 vcc_lo, 0, v6
	v_lshrrev_b32_e32 v7, 16, v7
	s_delay_alu instid0(VALU_DEP_3) | instskip(SKIP_4) | instid1(VALU_DEP_3)
	v_and_or_b32 v2, 0xffe, v4, v2
	s_wait_alu 0xfffd
	v_cndmask_b32_e64 v6, 0, 1, vcc_lo
	v_sub_nc_u32_e32 v4, 0x3f1, v10
	v_add_nc_u32_e32 v10, 0xfffffc10, v10
	v_and_or_b32 v6, 0xffe, v9, v6
	v_med3_i32 v9, v11, 0, 13
	v_or_b32_e32 v11, 0x1000, v2
	v_med3_i32 v4, v4, 0, 13
	s_delay_alu instid0(VALU_DEP_4) | instskip(NEXT) | instid1(VALU_DEP_3)
	v_or_b32_e32 v12, 0x1000, v6
	v_lshrrev_b32_e32 v13, v9, v11
	s_delay_alu instid0(VALU_DEP_2) | instskip(NEXT) | instid1(VALU_DEP_2)
	v_lshrrev_b32_e32 v14, v4, v12
	v_lshlrev_b32_e32 v9, v9, v13
	s_delay_alu instid0(VALU_DEP_2) | instskip(NEXT) | instid1(VALU_DEP_2)
	v_lshlrev_b32_e32 v4, v4, v14
	v_cmp_ne_u32_e32 vcc_lo, v9, v11
	v_lshl_or_b32 v11, v8, 12, v2
	s_wait_alu 0xfffd
	v_cndmask_b32_e64 v9, 0, 1, vcc_lo
	v_cmp_ne_u32_e32 vcc_lo, v4, v12
	v_lshl_or_b32 v12, v10, 12, v6
	s_delay_alu instid0(VALU_DEP_3) | instskip(SKIP_3) | instid1(VALU_DEP_2)
	v_or_b32_e32 v9, v13, v9
	s_wait_alu 0xfffd
	v_cndmask_b32_e64 v4, 0, 1, vcc_lo
	v_cmp_gt_i32_e32 vcc_lo, 1, v8
	v_or_b32_e32 v4, v14, v4
	s_wait_alu 0xfffd
	v_cndmask_b32_e32 v9, v11, v9, vcc_lo
	v_cmp_gt_i32_e32 vcc_lo, 1, v10
	s_wait_alu 0xfffd
	s_delay_alu instid0(VALU_DEP_2) | instskip(SKIP_2) | instid1(VALU_DEP_3)
	v_dual_cndmask_b32 v4, v12, v4 :: v_dual_and_b32 v11, 7, v9
	v_cmp_ne_u32_e32 vcc_lo, 0, v2
	v_lshrrev_b32_e32 v9, 2, v9
	v_cmp_eq_u32_e64 s0, 3, v11
	s_delay_alu instid0(VALU_DEP_4)
	v_and_b32_e32 v12, 7, v4
	s_wait_alu 0xfffd
	v_cndmask_b32_e64 v2, 0, 1, vcc_lo
	v_cmp_ne_u32_e32 vcc_lo, 0, v6
	v_lshrrev_b32_e32 v4, 2, v4
	v_cmp_lt_i32_e64 s1, 5, v12
	v_cmp_eq_u32_e64 s2, 3, v12
	s_wait_alu 0xfffd
	v_cndmask_b32_e64 v6, 0, 1, vcc_lo
	v_cmp_lt_i32_e32 vcc_lo, 5, v11
	v_lshl_or_b32 v2, v2, 9, 0x7c00
	s_delay_alu instid0(VALU_DEP_3)
	v_lshl_or_b32 v6, v6, 9, 0x7c00
	s_or_b32 vcc_lo, s0, vcc_lo
	s_wait_alu 0xfffe
	v_add_co_ci_u32_e32 v9, vcc_lo, 0, v9, vcc_lo
	s_or_b32 vcc_lo, s2, s1
	s_wait_alu 0xfffe
	v_add_co_ci_u32_e32 v4, vcc_lo, 0, v4, vcc_lo
	v_cmp_gt_i32_e32 vcc_lo, 31, v8
	s_wait_alu 0xfffd
	v_cndmask_b32_e32 v9, 0x7c00, v9, vcc_lo
	v_cmp_gt_i32_e32 vcc_lo, 31, v10
	s_wait_alu 0xfffd
	v_cndmask_b32_e32 v4, 0x7c00, v4, vcc_lo
	v_cmp_eq_u32_e32 vcc_lo, 0x40f, v8
	s_wait_alu 0xfffd
	v_cndmask_b32_e32 v2, v9, v2, vcc_lo
	v_cmp_eq_u32_e32 vcc_lo, 0x40f, v10
	s_delay_alu instid0(VALU_DEP_2)
	v_and_or_b32 v2, 0x8000, v5, v2
	s_wait_alu 0xfffd
	v_cndmask_b32_e32 v4, v4, v6, vcc_lo
	v_add_co_u32 v0, vcc_lo, v0, s6
	s_wait_alu 0xfffd
	v_add_co_ci_u32_e32 v1, vcc_lo, s7, v1, vcc_lo
	s_delay_alu instid0(VALU_DEP_3) | instskip(SKIP_1) | instid1(VALU_DEP_1)
	v_and_or_b32 v4, 0x8000, v7, v4
	v_and_b32_e32 v2, 0xffff, v2
	v_lshl_or_b32 v2, v4, 16, v2
	v_lshrrev_b32_e32 v4, 16, v3
	global_store_b32 v[0:1], v2, off
	global_load_b32 v2, v[20:21], off offset:2128
	s_wait_loadcnt 0x0
	v_lshrrev_b32_e32 v5, 16, v2
	s_delay_alu instid0(VALU_DEP_1) | instskip(SKIP_1) | instid1(VALU_DEP_2)
	v_mul_f16_e32 v6, v4, v5
	v_mul_f16_e32 v5, v3, v5
	v_fmac_f16_e32 v6, v3, v2
	s_delay_alu instid0(VALU_DEP_2) | instskip(NEXT) | instid1(VALU_DEP_2)
	v_fma_f16 v2, v2, v4, -v5
	v_cvt_f32_f16_e32 v3, v6
	s_delay_alu instid0(VALU_DEP_2) | instskip(NEXT) | instid1(VALU_DEP_2)
	v_cvt_f32_f16_e32 v4, v2
	v_cvt_f64_f32_e32 v[2:3], v3
	s_delay_alu instid0(VALU_DEP_2) | instskip(NEXT) | instid1(VALU_DEP_2)
	v_cvt_f64_f32_e32 v[4:5], v4
	v_mul_f64_e32 v[2:3], s[8:9], v[2:3]
	s_delay_alu instid0(VALU_DEP_2) | instskip(NEXT) | instid1(VALU_DEP_2)
	v_mul_f64_e32 v[4:5], s[8:9], v[4:5]
	v_and_or_b32 v2, 0x1ff, v3, v2
	s_delay_alu instid0(VALU_DEP_2)
	v_and_or_b32 v4, 0x1ff, v5, v4
	v_lshrrev_b32_e32 v6, 8, v3
	v_bfe_u32 v7, v3, 20, 11
	v_lshrrev_b32_e32 v8, 8, v5
	v_cmp_ne_u32_e32 vcc_lo, 0, v2
	v_bfe_u32 v9, v5, 20, 11
	v_lshrrev_b32_e32 v3, 16, v3
	v_sub_nc_u32_e32 v10, 0x3f1, v7
	v_add_nc_u32_e32 v7, 0xfffffc10, v7
	s_wait_alu 0xfffd
	v_cndmask_b32_e64 v2, 0, 1, vcc_lo
	v_cmp_ne_u32_e32 vcc_lo, 0, v4
	v_lshrrev_b32_e32 v5, 16, v5
	s_delay_alu instid0(VALU_DEP_3) | instskip(SKIP_4) | instid1(VALU_DEP_3)
	v_and_or_b32 v2, 0xffe, v6, v2
	s_wait_alu 0xfffd
	v_cndmask_b32_e64 v4, 0, 1, vcc_lo
	v_sub_nc_u32_e32 v6, 0x3f1, v9
	v_add_nc_u32_e32 v9, 0xfffffc10, v9
	v_and_or_b32 v4, 0xffe, v8, v4
	v_med3_i32 v8, v10, 0, 13
	v_or_b32_e32 v10, 0x1000, v2
	v_med3_i32 v6, v6, 0, 13
	s_delay_alu instid0(VALU_DEP_4) | instskip(NEXT) | instid1(VALU_DEP_3)
	v_or_b32_e32 v11, 0x1000, v4
	v_lshrrev_b32_e32 v12, v8, v10
	s_delay_alu instid0(VALU_DEP_2) | instskip(NEXT) | instid1(VALU_DEP_2)
	v_lshrrev_b32_e32 v13, v6, v11
	v_lshlrev_b32_e32 v8, v8, v12
	s_delay_alu instid0(VALU_DEP_2) | instskip(NEXT) | instid1(VALU_DEP_2)
	v_lshlrev_b32_e32 v6, v6, v13
	v_cmp_ne_u32_e32 vcc_lo, v8, v10
	v_lshl_or_b32 v10, v7, 12, v2
	s_wait_alu 0xfffd
	v_cndmask_b32_e64 v8, 0, 1, vcc_lo
	v_cmp_ne_u32_e32 vcc_lo, v6, v11
	v_lshl_or_b32 v11, v9, 12, v4
	s_delay_alu instid0(VALU_DEP_3) | instskip(SKIP_3) | instid1(VALU_DEP_2)
	v_or_b32_e32 v8, v12, v8
	s_wait_alu 0xfffd
	v_cndmask_b32_e64 v6, 0, 1, vcc_lo
	v_cmp_gt_i32_e32 vcc_lo, 1, v7
	v_or_b32_e32 v6, v13, v6
	s_wait_alu 0xfffd
	v_cndmask_b32_e32 v8, v10, v8, vcc_lo
	v_cmp_gt_i32_e32 vcc_lo, 1, v9
	s_delay_alu instid0(VALU_DEP_2)
	v_and_b32_e32 v10, 7, v8
	s_wait_alu 0xfffd
	v_cndmask_b32_e32 v6, v11, v6, vcc_lo
	v_cmp_ne_u32_e32 vcc_lo, 0, v2
	v_lshrrev_b32_e32 v8, 2, v8
	v_cmp_eq_u32_e64 s0, 3, v10
	s_delay_alu instid0(VALU_DEP_4)
	v_and_b32_e32 v11, 7, v6
	s_wait_alu 0xfffd
	v_cndmask_b32_e64 v2, 0, 1, vcc_lo
	v_cmp_ne_u32_e32 vcc_lo, 0, v4
	v_lshrrev_b32_e32 v6, 2, v6
	v_cmp_lt_i32_e64 s1, 5, v11
	v_cmp_eq_u32_e64 s2, 3, v11
	s_wait_alu 0xfffd
	v_cndmask_b32_e64 v4, 0, 1, vcc_lo
	v_cmp_lt_i32_e32 vcc_lo, 5, v10
	v_lshl_or_b32 v2, v2, 9, 0x7c00
	s_delay_alu instid0(VALU_DEP_3)
	v_lshl_or_b32 v4, v4, 9, 0x7c00
	s_or_b32 vcc_lo, s0, vcc_lo
	s_wait_alu 0xfffe
	v_add_co_ci_u32_e32 v8, vcc_lo, 0, v8, vcc_lo
	s_or_b32 vcc_lo, s2, s1
	s_wait_alu 0xfffe
	v_add_co_ci_u32_e32 v6, vcc_lo, 0, v6, vcc_lo
	v_cmp_gt_i32_e32 vcc_lo, 31, v7
	s_wait_alu 0xfffd
	v_cndmask_b32_e32 v8, 0x7c00, v8, vcc_lo
	v_cmp_gt_i32_e32 vcc_lo, 31, v9
	s_wait_alu 0xfffd
	v_cndmask_b32_e32 v6, 0x7c00, v6, vcc_lo
	v_cmp_eq_u32_e32 vcc_lo, 0x40f, v7
	s_wait_alu 0xfffd
	v_cndmask_b32_e32 v2, v8, v2, vcc_lo
	v_cmp_eq_u32_e32 vcc_lo, 0x40f, v9
	s_delay_alu instid0(VALU_DEP_2)
	v_and_or_b32 v2, 0x8000, v3, v2
	s_wait_alu 0xfffd
	v_cndmask_b32_e32 v4, v6, v4, vcc_lo
	v_add_co_u32 v0, vcc_lo, v0, s6
	s_wait_alu 0xfffd
	v_add_co_ci_u32_e32 v1, vcc_lo, s7, v1, vcc_lo
	s_delay_alu instid0(VALU_DEP_3) | instskip(SKIP_1) | instid1(VALU_DEP_1)
	v_and_or_b32 v3, 0x8000, v5, v4
	v_and_b32_e32 v2, 0xffff, v2
	v_lshl_or_b32 v2, v3, 16, v2
	global_store_b32 v[0:1], v2, off
	global_load_b32 v4, v[20:21], off offset:2716
	ds_load_2addr_b32 v[2:3], v24 offset0:39 offset1:186
	s_wait_dscnt 0x0
	v_lshrrev_b32_e32 v5, 16, v2
	s_wait_loadcnt 0x0
	v_lshrrev_b32_e32 v6, 16, v4
	s_delay_alu instid0(VALU_DEP_1) | instskip(SKIP_1) | instid1(VALU_DEP_2)
	v_mul_f16_e32 v7, v5, v6
	v_mul_f16_e32 v6, v2, v6
	v_fmac_f16_e32 v7, v2, v4
	s_delay_alu instid0(VALU_DEP_2) | instskip(NEXT) | instid1(VALU_DEP_2)
	v_fma_f16 v2, v4, v5, -v6
	v_cvt_f32_f16_e32 v4, v7
	s_delay_alu instid0(VALU_DEP_2) | instskip(NEXT) | instid1(VALU_DEP_2)
	v_cvt_f32_f16_e32 v2, v2
	v_cvt_f64_f32_e32 v[4:5], v4
	s_delay_alu instid0(VALU_DEP_2) | instskip(NEXT) | instid1(VALU_DEP_2)
	v_cvt_f64_f32_e32 v[6:7], v2
	v_mul_f64_e32 v[4:5], s[8:9], v[4:5]
	s_delay_alu instid0(VALU_DEP_2) | instskip(NEXT) | instid1(VALU_DEP_2)
	v_mul_f64_e32 v[6:7], s[8:9], v[6:7]
	v_and_or_b32 v2, 0x1ff, v5, v4
	s_delay_alu instid0(VALU_DEP_2)
	v_and_or_b32 v6, 0x1ff, v7, v6
	v_lshrrev_b32_e32 v4, 8, v5
	v_bfe_u32 v8, v5, 20, 11
	v_lshrrev_b32_e32 v9, 8, v7
	v_cmp_ne_u32_e32 vcc_lo, 0, v2
	v_bfe_u32 v10, v7, 20, 11
	v_lshrrev_b32_e32 v5, 16, v5
	v_sub_nc_u32_e32 v11, 0x3f1, v8
	v_add_nc_u32_e32 v8, 0xfffffc10, v8
	s_wait_alu 0xfffd
	v_cndmask_b32_e64 v2, 0, 1, vcc_lo
	v_cmp_ne_u32_e32 vcc_lo, 0, v6
	v_lshrrev_b32_e32 v7, 16, v7
	s_delay_alu instid0(VALU_DEP_3) | instskip(SKIP_4) | instid1(VALU_DEP_3)
	v_and_or_b32 v2, 0xffe, v4, v2
	s_wait_alu 0xfffd
	v_cndmask_b32_e64 v6, 0, 1, vcc_lo
	v_sub_nc_u32_e32 v4, 0x3f1, v10
	v_add_nc_u32_e32 v10, 0xfffffc10, v10
	v_and_or_b32 v6, 0xffe, v9, v6
	v_med3_i32 v9, v11, 0, 13
	v_or_b32_e32 v11, 0x1000, v2
	v_med3_i32 v4, v4, 0, 13
	s_delay_alu instid0(VALU_DEP_4) | instskip(NEXT) | instid1(VALU_DEP_3)
	v_or_b32_e32 v12, 0x1000, v6
	v_lshrrev_b32_e32 v13, v9, v11
	s_delay_alu instid0(VALU_DEP_2) | instskip(NEXT) | instid1(VALU_DEP_2)
	v_lshrrev_b32_e32 v14, v4, v12
	v_lshlrev_b32_e32 v9, v9, v13
	s_delay_alu instid0(VALU_DEP_2) | instskip(NEXT) | instid1(VALU_DEP_2)
	v_lshlrev_b32_e32 v4, v4, v14
	v_cmp_ne_u32_e32 vcc_lo, v9, v11
	v_lshl_or_b32 v11, v8, 12, v2
	s_wait_alu 0xfffd
	v_cndmask_b32_e64 v9, 0, 1, vcc_lo
	v_cmp_ne_u32_e32 vcc_lo, v4, v12
	v_lshl_or_b32 v12, v10, 12, v6
	s_delay_alu instid0(VALU_DEP_3) | instskip(SKIP_3) | instid1(VALU_DEP_2)
	v_or_b32_e32 v9, v13, v9
	s_wait_alu 0xfffd
	v_cndmask_b32_e64 v4, 0, 1, vcc_lo
	v_cmp_gt_i32_e32 vcc_lo, 1, v8
	v_or_b32_e32 v4, v14, v4
	s_wait_alu 0xfffd
	v_cndmask_b32_e32 v9, v11, v9, vcc_lo
	v_cmp_gt_i32_e32 vcc_lo, 1, v10
	s_wait_alu 0xfffd
	s_delay_alu instid0(VALU_DEP_2) | instskip(SKIP_2) | instid1(VALU_DEP_3)
	v_dual_cndmask_b32 v4, v12, v4 :: v_dual_and_b32 v11, 7, v9
	v_cmp_ne_u32_e32 vcc_lo, 0, v2
	v_lshrrev_b32_e32 v9, 2, v9
	v_cmp_eq_u32_e64 s0, 3, v11
	s_delay_alu instid0(VALU_DEP_4)
	v_and_b32_e32 v12, 7, v4
	s_wait_alu 0xfffd
	v_cndmask_b32_e64 v2, 0, 1, vcc_lo
	v_cmp_ne_u32_e32 vcc_lo, 0, v6
	v_lshrrev_b32_e32 v4, 2, v4
	v_cmp_lt_i32_e64 s1, 5, v12
	v_cmp_eq_u32_e64 s2, 3, v12
	s_wait_alu 0xfffd
	v_cndmask_b32_e64 v6, 0, 1, vcc_lo
	v_cmp_lt_i32_e32 vcc_lo, 5, v11
	v_lshl_or_b32 v2, v2, 9, 0x7c00
	s_delay_alu instid0(VALU_DEP_3)
	v_lshl_or_b32 v6, v6, 9, 0x7c00
	s_or_b32 vcc_lo, s0, vcc_lo
	s_wait_alu 0xfffe
	v_add_co_ci_u32_e32 v9, vcc_lo, 0, v9, vcc_lo
	s_or_b32 vcc_lo, s2, s1
	s_wait_alu 0xfffe
	v_add_co_ci_u32_e32 v4, vcc_lo, 0, v4, vcc_lo
	v_cmp_gt_i32_e32 vcc_lo, 31, v8
	s_wait_alu 0xfffd
	v_cndmask_b32_e32 v9, 0x7c00, v9, vcc_lo
	v_cmp_gt_i32_e32 vcc_lo, 31, v10
	s_wait_alu 0xfffd
	v_cndmask_b32_e32 v4, 0x7c00, v4, vcc_lo
	v_cmp_eq_u32_e32 vcc_lo, 0x40f, v8
	s_wait_alu 0xfffd
	v_cndmask_b32_e32 v2, v9, v2, vcc_lo
	v_cmp_eq_u32_e32 vcc_lo, 0x40f, v10
	s_delay_alu instid0(VALU_DEP_2)
	v_and_or_b32 v2, 0x8000, v5, v2
	s_wait_alu 0xfffd
	v_cndmask_b32_e32 v4, v4, v6, vcc_lo
	v_add_co_u32 v0, vcc_lo, v0, s6
	s_wait_alu 0xfffd
	v_add_co_ci_u32_e32 v1, vcc_lo, s7, v1, vcc_lo
	s_delay_alu instid0(VALU_DEP_3) | instskip(SKIP_1) | instid1(VALU_DEP_1)
	v_and_or_b32 v4, 0x8000, v7, v4
	v_and_b32_e32 v2, 0xffff, v2
	v_lshl_or_b32 v2, v4, 16, v2
	v_lshrrev_b32_e32 v4, 16, v3
	global_store_b32 v[0:1], v2, off
	global_load_b32 v2, v[20:21], off offset:3304
	s_wait_loadcnt 0x0
	v_lshrrev_b32_e32 v5, 16, v2
	s_delay_alu instid0(VALU_DEP_1) | instskip(SKIP_1) | instid1(VALU_DEP_2)
	v_mul_f16_e32 v6, v4, v5
	v_mul_f16_e32 v5, v3, v5
	v_fmac_f16_e32 v6, v3, v2
	s_delay_alu instid0(VALU_DEP_2) | instskip(NEXT) | instid1(VALU_DEP_2)
	v_fma_f16 v2, v2, v4, -v5
	v_cvt_f32_f16_e32 v3, v6
	s_delay_alu instid0(VALU_DEP_2) | instskip(NEXT) | instid1(VALU_DEP_2)
	v_cvt_f32_f16_e32 v4, v2
	v_cvt_f64_f32_e32 v[2:3], v3
	s_delay_alu instid0(VALU_DEP_2) | instskip(NEXT) | instid1(VALU_DEP_2)
	v_cvt_f64_f32_e32 v[4:5], v4
	v_mul_f64_e32 v[2:3], s[8:9], v[2:3]
	s_delay_alu instid0(VALU_DEP_2) | instskip(NEXT) | instid1(VALU_DEP_2)
	v_mul_f64_e32 v[4:5], s[8:9], v[4:5]
	v_and_or_b32 v2, 0x1ff, v3, v2
	s_delay_alu instid0(VALU_DEP_2)
	v_and_or_b32 v4, 0x1ff, v5, v4
	v_lshrrev_b32_e32 v6, 8, v3
	v_bfe_u32 v7, v3, 20, 11
	v_lshrrev_b32_e32 v8, 8, v5
	v_cmp_ne_u32_e32 vcc_lo, 0, v2
	v_bfe_u32 v9, v5, 20, 11
	v_lshrrev_b32_e32 v3, 16, v3
	v_sub_nc_u32_e32 v10, 0x3f1, v7
	v_add_nc_u32_e32 v7, 0xfffffc10, v7
	s_wait_alu 0xfffd
	v_cndmask_b32_e64 v2, 0, 1, vcc_lo
	v_cmp_ne_u32_e32 vcc_lo, 0, v4
	v_lshrrev_b32_e32 v5, 16, v5
	s_delay_alu instid0(VALU_DEP_3) | instskip(SKIP_4) | instid1(VALU_DEP_3)
	v_and_or_b32 v2, 0xffe, v6, v2
	s_wait_alu 0xfffd
	v_cndmask_b32_e64 v4, 0, 1, vcc_lo
	v_sub_nc_u32_e32 v6, 0x3f1, v9
	v_add_nc_u32_e32 v9, 0xfffffc10, v9
	v_and_or_b32 v4, 0xffe, v8, v4
	v_med3_i32 v8, v10, 0, 13
	v_or_b32_e32 v10, 0x1000, v2
	v_med3_i32 v6, v6, 0, 13
	s_delay_alu instid0(VALU_DEP_4) | instskip(NEXT) | instid1(VALU_DEP_3)
	v_or_b32_e32 v11, 0x1000, v4
	v_lshrrev_b32_e32 v12, v8, v10
	s_delay_alu instid0(VALU_DEP_2) | instskip(NEXT) | instid1(VALU_DEP_2)
	v_lshrrev_b32_e32 v13, v6, v11
	v_lshlrev_b32_e32 v8, v8, v12
	s_delay_alu instid0(VALU_DEP_2) | instskip(NEXT) | instid1(VALU_DEP_2)
	v_lshlrev_b32_e32 v6, v6, v13
	v_cmp_ne_u32_e32 vcc_lo, v8, v10
	v_lshl_or_b32 v10, v7, 12, v2
	s_wait_alu 0xfffd
	v_cndmask_b32_e64 v8, 0, 1, vcc_lo
	v_cmp_ne_u32_e32 vcc_lo, v6, v11
	v_lshl_or_b32 v11, v9, 12, v4
	s_delay_alu instid0(VALU_DEP_3) | instskip(SKIP_3) | instid1(VALU_DEP_2)
	v_or_b32_e32 v8, v12, v8
	s_wait_alu 0xfffd
	v_cndmask_b32_e64 v6, 0, 1, vcc_lo
	v_cmp_gt_i32_e32 vcc_lo, 1, v7
	v_or_b32_e32 v6, v13, v6
	s_wait_alu 0xfffd
	v_cndmask_b32_e32 v8, v10, v8, vcc_lo
	v_cmp_gt_i32_e32 vcc_lo, 1, v9
	s_delay_alu instid0(VALU_DEP_2)
	v_and_b32_e32 v10, 7, v8
	s_wait_alu 0xfffd
	v_cndmask_b32_e32 v6, v11, v6, vcc_lo
	v_cmp_ne_u32_e32 vcc_lo, 0, v2
	v_lshrrev_b32_e32 v8, 2, v8
	v_cmp_eq_u32_e64 s0, 3, v10
	s_delay_alu instid0(VALU_DEP_4)
	v_and_b32_e32 v11, 7, v6
	s_wait_alu 0xfffd
	v_cndmask_b32_e64 v2, 0, 1, vcc_lo
	v_cmp_ne_u32_e32 vcc_lo, 0, v4
	v_lshrrev_b32_e32 v6, 2, v6
	v_cmp_lt_i32_e64 s1, 5, v11
	v_cmp_eq_u32_e64 s2, 3, v11
	s_wait_alu 0xfffd
	v_cndmask_b32_e64 v4, 0, 1, vcc_lo
	v_cmp_lt_i32_e32 vcc_lo, 5, v10
	v_lshl_or_b32 v2, v2, 9, 0x7c00
	s_delay_alu instid0(VALU_DEP_3)
	v_lshl_or_b32 v4, v4, 9, 0x7c00
	s_or_b32 vcc_lo, s0, vcc_lo
	s_wait_alu 0xfffe
	v_add_co_ci_u32_e32 v8, vcc_lo, 0, v8, vcc_lo
	s_or_b32 vcc_lo, s2, s1
	s_wait_alu 0xfffe
	v_add_co_ci_u32_e32 v6, vcc_lo, 0, v6, vcc_lo
	v_cmp_gt_i32_e32 vcc_lo, 31, v7
	s_wait_alu 0xfffd
	v_cndmask_b32_e32 v8, 0x7c00, v8, vcc_lo
	v_cmp_gt_i32_e32 vcc_lo, 31, v9
	s_wait_alu 0xfffd
	v_cndmask_b32_e32 v6, 0x7c00, v6, vcc_lo
	v_cmp_eq_u32_e32 vcc_lo, 0x40f, v7
	s_wait_alu 0xfffd
	v_cndmask_b32_e32 v2, v8, v2, vcc_lo
	v_cmp_eq_u32_e32 vcc_lo, 0x40f, v9
	s_delay_alu instid0(VALU_DEP_2)
	v_and_or_b32 v2, 0x8000, v3, v2
	s_wait_alu 0xfffd
	v_cndmask_b32_e32 v4, v6, v4, vcc_lo
	v_add_co_u32 v0, vcc_lo, v0, s6
	s_wait_alu 0xfffd
	v_add_co_ci_u32_e32 v1, vcc_lo, s7, v1, vcc_lo
	s_delay_alu instid0(VALU_DEP_3) | instskip(SKIP_1) | instid1(VALU_DEP_1)
	v_and_or_b32 v3, 0x8000, v5, v4
	v_and_b32_e32 v2, 0xffff, v2
	v_lshl_or_b32 v2, v3, 16, v2
	global_store_b32 v[0:1], v2, off
	global_load_b32 v4, v[20:21], off offset:3892
	v_add_nc_u32_e32 v2, 0xe00, v73
	ds_load_2addr_b32 v[2:3], v2 offset0:77 offset1:224
	s_wait_dscnt 0x0
	v_lshrrev_b32_e32 v5, 16, v2
	s_wait_loadcnt 0x0
	v_lshrrev_b32_e32 v6, 16, v4
	s_delay_alu instid0(VALU_DEP_1) | instskip(SKIP_1) | instid1(VALU_DEP_2)
	v_mul_f16_e32 v7, v5, v6
	v_mul_f16_e32 v6, v2, v6
	v_fmac_f16_e32 v7, v2, v4
	s_delay_alu instid0(VALU_DEP_2) | instskip(NEXT) | instid1(VALU_DEP_2)
	v_fma_f16 v2, v4, v5, -v6
	v_cvt_f32_f16_e32 v4, v7
	s_delay_alu instid0(VALU_DEP_2) | instskip(NEXT) | instid1(VALU_DEP_2)
	v_cvt_f32_f16_e32 v2, v2
	v_cvt_f64_f32_e32 v[4:5], v4
	s_delay_alu instid0(VALU_DEP_2) | instskip(NEXT) | instid1(VALU_DEP_2)
	v_cvt_f64_f32_e32 v[6:7], v2
	v_mul_f64_e32 v[4:5], s[8:9], v[4:5]
	s_delay_alu instid0(VALU_DEP_2) | instskip(NEXT) | instid1(VALU_DEP_2)
	v_mul_f64_e32 v[6:7], s[8:9], v[6:7]
	v_and_or_b32 v2, 0x1ff, v5, v4
	s_delay_alu instid0(VALU_DEP_2)
	v_and_or_b32 v6, 0x1ff, v7, v6
	v_lshrrev_b32_e32 v4, 8, v5
	v_bfe_u32 v8, v5, 20, 11
	v_lshrrev_b32_e32 v9, 8, v7
	v_cmp_ne_u32_e32 vcc_lo, 0, v2
	v_bfe_u32 v10, v7, 20, 11
	v_lshrrev_b32_e32 v5, 16, v5
	v_sub_nc_u32_e32 v11, 0x3f1, v8
	v_add_nc_u32_e32 v8, 0xfffffc10, v8
	s_wait_alu 0xfffd
	v_cndmask_b32_e64 v2, 0, 1, vcc_lo
	v_cmp_ne_u32_e32 vcc_lo, 0, v6
	v_lshrrev_b32_e32 v7, 16, v7
	s_delay_alu instid0(VALU_DEP_3) | instskip(SKIP_4) | instid1(VALU_DEP_3)
	v_and_or_b32 v2, 0xffe, v4, v2
	s_wait_alu 0xfffd
	v_cndmask_b32_e64 v6, 0, 1, vcc_lo
	v_sub_nc_u32_e32 v4, 0x3f1, v10
	v_add_nc_u32_e32 v10, 0xfffffc10, v10
	v_and_or_b32 v6, 0xffe, v9, v6
	v_med3_i32 v9, v11, 0, 13
	v_or_b32_e32 v11, 0x1000, v2
	v_med3_i32 v4, v4, 0, 13
	s_delay_alu instid0(VALU_DEP_4) | instskip(NEXT) | instid1(VALU_DEP_3)
	v_or_b32_e32 v12, 0x1000, v6
	v_lshrrev_b32_e32 v13, v9, v11
	s_delay_alu instid0(VALU_DEP_2) | instskip(NEXT) | instid1(VALU_DEP_2)
	v_lshrrev_b32_e32 v14, v4, v12
	v_lshlrev_b32_e32 v9, v9, v13
	s_delay_alu instid0(VALU_DEP_2) | instskip(NEXT) | instid1(VALU_DEP_2)
	v_lshlrev_b32_e32 v4, v4, v14
	v_cmp_ne_u32_e32 vcc_lo, v9, v11
	v_lshl_or_b32 v11, v8, 12, v2
	s_wait_alu 0xfffd
	v_cndmask_b32_e64 v9, 0, 1, vcc_lo
	v_cmp_ne_u32_e32 vcc_lo, v4, v12
	v_lshl_or_b32 v12, v10, 12, v6
	s_delay_alu instid0(VALU_DEP_3) | instskip(SKIP_3) | instid1(VALU_DEP_2)
	v_or_b32_e32 v9, v13, v9
	s_wait_alu 0xfffd
	v_cndmask_b32_e64 v4, 0, 1, vcc_lo
	v_cmp_gt_i32_e32 vcc_lo, 1, v8
	v_or_b32_e32 v4, v14, v4
	s_wait_alu 0xfffd
	v_cndmask_b32_e32 v9, v11, v9, vcc_lo
	v_cmp_gt_i32_e32 vcc_lo, 1, v10
	s_wait_alu 0xfffd
	s_delay_alu instid0(VALU_DEP_2) | instskip(SKIP_2) | instid1(VALU_DEP_3)
	v_dual_cndmask_b32 v4, v12, v4 :: v_dual_and_b32 v11, 7, v9
	v_cmp_ne_u32_e32 vcc_lo, 0, v2
	v_lshrrev_b32_e32 v9, 2, v9
	v_cmp_eq_u32_e64 s0, 3, v11
	s_delay_alu instid0(VALU_DEP_4)
	v_and_b32_e32 v12, 7, v4
	s_wait_alu 0xfffd
	v_cndmask_b32_e64 v2, 0, 1, vcc_lo
	v_cmp_ne_u32_e32 vcc_lo, 0, v6
	v_lshrrev_b32_e32 v4, 2, v4
	v_cmp_lt_i32_e64 s1, 5, v12
	v_cmp_eq_u32_e64 s2, 3, v12
	s_wait_alu 0xfffd
	v_cndmask_b32_e64 v6, 0, 1, vcc_lo
	v_cmp_lt_i32_e32 vcc_lo, 5, v11
	v_lshl_or_b32 v2, v2, 9, 0x7c00
	s_delay_alu instid0(VALU_DEP_3)
	v_lshl_or_b32 v6, v6, 9, 0x7c00
	s_or_b32 vcc_lo, s0, vcc_lo
	s_wait_alu 0xfffe
	v_add_co_ci_u32_e32 v9, vcc_lo, 0, v9, vcc_lo
	s_or_b32 vcc_lo, s2, s1
	s_wait_alu 0xfffe
	v_add_co_ci_u32_e32 v4, vcc_lo, 0, v4, vcc_lo
	v_cmp_gt_i32_e32 vcc_lo, 31, v8
	s_wait_alu 0xfffd
	v_cndmask_b32_e32 v9, 0x7c00, v9, vcc_lo
	v_cmp_gt_i32_e32 vcc_lo, 31, v10
	s_wait_alu 0xfffd
	v_cndmask_b32_e32 v4, 0x7c00, v4, vcc_lo
	v_cmp_eq_u32_e32 vcc_lo, 0x40f, v8
	s_wait_alu 0xfffd
	v_cndmask_b32_e32 v2, v9, v2, vcc_lo
	v_cmp_eq_u32_e32 vcc_lo, 0x40f, v10
	s_delay_alu instid0(VALU_DEP_2)
	v_and_or_b32 v2, 0x8000, v5, v2
	s_wait_alu 0xfffd
	v_cndmask_b32_e32 v4, v4, v6, vcc_lo
	v_add_co_u32 v0, vcc_lo, v0, s6
	s_wait_alu 0xfffd
	v_add_co_ci_u32_e32 v1, vcc_lo, s7, v1, vcc_lo
	s_delay_alu instid0(VALU_DEP_3) | instskip(SKIP_1) | instid1(VALU_DEP_1)
	v_and_or_b32 v4, 0x8000, v7, v4
	v_and_b32_e32 v2, 0xffff, v2
	v_lshl_or_b32 v2, v4, 16, v2
	v_lshrrev_b32_e32 v4, 16, v3
	global_store_b32 v[0:1], v2, off
	global_load_b32 v2, v[20:21], off offset:4480
	s_wait_loadcnt 0x0
	v_lshrrev_b32_e32 v5, 16, v2
	s_delay_alu instid0(VALU_DEP_1) | instskip(SKIP_1) | instid1(VALU_DEP_2)
	v_mul_f16_e32 v6, v4, v5
	v_mul_f16_e32 v5, v3, v5
	v_fmac_f16_e32 v6, v3, v2
	s_delay_alu instid0(VALU_DEP_2) | instskip(NEXT) | instid1(VALU_DEP_2)
	v_fma_f16 v2, v2, v4, -v5
	v_cvt_f32_f16_e32 v3, v6
	s_delay_alu instid0(VALU_DEP_2) | instskip(NEXT) | instid1(VALU_DEP_2)
	v_cvt_f32_f16_e32 v4, v2
	v_cvt_f64_f32_e32 v[2:3], v3
	s_delay_alu instid0(VALU_DEP_2) | instskip(NEXT) | instid1(VALU_DEP_2)
	v_cvt_f64_f32_e32 v[4:5], v4
	v_mul_f64_e32 v[2:3], s[8:9], v[2:3]
	s_delay_alu instid0(VALU_DEP_2) | instskip(NEXT) | instid1(VALU_DEP_2)
	v_mul_f64_e32 v[4:5], s[8:9], v[4:5]
	v_and_or_b32 v2, 0x1ff, v3, v2
	s_delay_alu instid0(VALU_DEP_2)
	v_and_or_b32 v4, 0x1ff, v5, v4
	v_lshrrev_b32_e32 v6, 8, v3
	v_bfe_u32 v7, v3, 20, 11
	v_lshrrev_b32_e32 v8, 8, v5
	v_cmp_ne_u32_e32 vcc_lo, 0, v2
	v_bfe_u32 v9, v5, 20, 11
	v_lshrrev_b32_e32 v3, 16, v3
	v_sub_nc_u32_e32 v10, 0x3f1, v7
	v_add_nc_u32_e32 v7, 0xfffffc10, v7
	s_wait_alu 0xfffd
	v_cndmask_b32_e64 v2, 0, 1, vcc_lo
	v_cmp_ne_u32_e32 vcc_lo, 0, v4
	v_lshrrev_b32_e32 v5, 16, v5
	s_delay_alu instid0(VALU_DEP_3) | instskip(SKIP_4) | instid1(VALU_DEP_3)
	v_and_or_b32 v2, 0xffe, v6, v2
	s_wait_alu 0xfffd
	v_cndmask_b32_e64 v4, 0, 1, vcc_lo
	v_sub_nc_u32_e32 v6, 0x3f1, v9
	v_add_nc_u32_e32 v9, 0xfffffc10, v9
	v_and_or_b32 v4, 0xffe, v8, v4
	v_med3_i32 v8, v10, 0, 13
	v_or_b32_e32 v10, 0x1000, v2
	v_med3_i32 v6, v6, 0, 13
	s_delay_alu instid0(VALU_DEP_4) | instskip(NEXT) | instid1(VALU_DEP_3)
	v_or_b32_e32 v11, 0x1000, v4
	v_lshrrev_b32_e32 v12, v8, v10
	s_delay_alu instid0(VALU_DEP_2) | instskip(NEXT) | instid1(VALU_DEP_2)
	v_lshrrev_b32_e32 v13, v6, v11
	v_lshlrev_b32_e32 v8, v8, v12
	s_delay_alu instid0(VALU_DEP_2) | instskip(NEXT) | instid1(VALU_DEP_2)
	v_lshlrev_b32_e32 v6, v6, v13
	v_cmp_ne_u32_e32 vcc_lo, v8, v10
	v_lshl_or_b32 v10, v7, 12, v2
	s_wait_alu 0xfffd
	v_cndmask_b32_e64 v8, 0, 1, vcc_lo
	v_cmp_ne_u32_e32 vcc_lo, v6, v11
	v_lshl_or_b32 v11, v9, 12, v4
	s_delay_alu instid0(VALU_DEP_3) | instskip(SKIP_3) | instid1(VALU_DEP_2)
	v_or_b32_e32 v8, v12, v8
	s_wait_alu 0xfffd
	v_cndmask_b32_e64 v6, 0, 1, vcc_lo
	v_cmp_gt_i32_e32 vcc_lo, 1, v7
	v_or_b32_e32 v6, v13, v6
	s_wait_alu 0xfffd
	v_cndmask_b32_e32 v8, v10, v8, vcc_lo
	v_cmp_gt_i32_e32 vcc_lo, 1, v9
	s_delay_alu instid0(VALU_DEP_2)
	v_and_b32_e32 v10, 7, v8
	s_wait_alu 0xfffd
	v_cndmask_b32_e32 v6, v11, v6, vcc_lo
	v_cmp_ne_u32_e32 vcc_lo, 0, v2
	v_lshrrev_b32_e32 v8, 2, v8
	v_cmp_eq_u32_e64 s0, 3, v10
	s_delay_alu instid0(VALU_DEP_4)
	v_and_b32_e32 v11, 7, v6
	s_wait_alu 0xfffd
	v_cndmask_b32_e64 v2, 0, 1, vcc_lo
	v_cmp_ne_u32_e32 vcc_lo, 0, v4
	v_lshrrev_b32_e32 v6, 2, v6
	v_cmp_lt_i32_e64 s1, 5, v11
	v_cmp_eq_u32_e64 s2, 3, v11
	s_wait_alu 0xfffd
	v_cndmask_b32_e64 v4, 0, 1, vcc_lo
	v_cmp_lt_i32_e32 vcc_lo, 5, v10
	v_lshl_or_b32 v2, v2, 9, 0x7c00
	s_delay_alu instid0(VALU_DEP_3)
	v_lshl_or_b32 v4, v4, 9, 0x7c00
	s_or_b32 vcc_lo, s0, vcc_lo
	s_wait_alu 0xfffe
	v_add_co_ci_u32_e32 v8, vcc_lo, 0, v8, vcc_lo
	s_or_b32 vcc_lo, s2, s1
	s_wait_alu 0xfffe
	v_add_co_ci_u32_e32 v6, vcc_lo, 0, v6, vcc_lo
	v_cmp_gt_i32_e32 vcc_lo, 31, v7
	s_wait_alu 0xfffd
	v_cndmask_b32_e32 v8, 0x7c00, v8, vcc_lo
	v_cmp_gt_i32_e32 vcc_lo, 31, v9
	s_wait_alu 0xfffd
	v_cndmask_b32_e32 v6, 0x7c00, v6, vcc_lo
	v_cmp_eq_u32_e32 vcc_lo, 0x40f, v7
	s_wait_alu 0xfffd
	v_cndmask_b32_e32 v2, v8, v2, vcc_lo
	v_cmp_eq_u32_e32 vcc_lo, 0x40f, v9
	s_delay_alu instid0(VALU_DEP_2)
	v_and_or_b32 v2, 0x8000, v3, v2
	s_wait_alu 0xfffd
	v_cndmask_b32_e32 v4, v6, v4, vcc_lo
	v_add_co_u32 v0, vcc_lo, v0, s6
	s_wait_alu 0xfffd
	v_add_co_ci_u32_e32 v1, vcc_lo, s7, v1, vcc_lo
	s_delay_alu instid0(VALU_DEP_3) | instskip(SKIP_1) | instid1(VALU_DEP_1)
	v_and_or_b32 v3, 0x8000, v5, v4
	v_and_b32_e32 v2, 0xffff, v2
	v_lshl_or_b32 v2, v3, 16, v2
	global_store_b32 v[0:1], v2, off
	global_load_b32 v4, v[20:21], off offset:5068
	v_add_nc_u32_e32 v2, 0x1300, v73
	ds_load_2addr_b32 v[2:3], v2 offset0:51 offset1:198
	s_wait_dscnt 0x0
	v_lshrrev_b32_e32 v5, 16, v2
	s_wait_loadcnt 0x0
	v_lshrrev_b32_e32 v6, 16, v4
	s_delay_alu instid0(VALU_DEP_1) | instskip(SKIP_1) | instid1(VALU_DEP_2)
	v_mul_f16_e32 v7, v5, v6
	v_mul_f16_e32 v6, v2, v6
	v_fmac_f16_e32 v7, v2, v4
	s_delay_alu instid0(VALU_DEP_2) | instskip(NEXT) | instid1(VALU_DEP_2)
	v_fma_f16 v2, v4, v5, -v6
	v_cvt_f32_f16_e32 v4, v7
	s_delay_alu instid0(VALU_DEP_2) | instskip(NEXT) | instid1(VALU_DEP_2)
	v_cvt_f32_f16_e32 v2, v2
	v_cvt_f64_f32_e32 v[4:5], v4
	s_delay_alu instid0(VALU_DEP_2) | instskip(NEXT) | instid1(VALU_DEP_2)
	v_cvt_f64_f32_e32 v[6:7], v2
	v_mul_f64_e32 v[4:5], s[8:9], v[4:5]
	s_delay_alu instid0(VALU_DEP_2) | instskip(NEXT) | instid1(VALU_DEP_2)
	v_mul_f64_e32 v[6:7], s[8:9], v[6:7]
	v_and_or_b32 v2, 0x1ff, v5, v4
	s_delay_alu instid0(VALU_DEP_2)
	v_and_or_b32 v6, 0x1ff, v7, v6
	v_lshrrev_b32_e32 v4, 8, v5
	v_bfe_u32 v8, v5, 20, 11
	v_lshrrev_b32_e32 v9, 8, v7
	v_cmp_ne_u32_e32 vcc_lo, 0, v2
	v_bfe_u32 v10, v7, 20, 11
	v_lshrrev_b32_e32 v5, 16, v5
	v_sub_nc_u32_e32 v11, 0x3f1, v8
	v_add_nc_u32_e32 v8, 0xfffffc10, v8
	s_wait_alu 0xfffd
	v_cndmask_b32_e64 v2, 0, 1, vcc_lo
	v_cmp_ne_u32_e32 vcc_lo, 0, v6
	v_lshrrev_b32_e32 v7, 16, v7
	s_delay_alu instid0(VALU_DEP_3) | instskip(SKIP_4) | instid1(VALU_DEP_3)
	v_and_or_b32 v2, 0xffe, v4, v2
	s_wait_alu 0xfffd
	v_cndmask_b32_e64 v6, 0, 1, vcc_lo
	v_sub_nc_u32_e32 v4, 0x3f1, v10
	v_add_nc_u32_e32 v10, 0xfffffc10, v10
	v_and_or_b32 v6, 0xffe, v9, v6
	v_med3_i32 v9, v11, 0, 13
	v_or_b32_e32 v11, 0x1000, v2
	v_med3_i32 v4, v4, 0, 13
	s_delay_alu instid0(VALU_DEP_4) | instskip(NEXT) | instid1(VALU_DEP_3)
	v_or_b32_e32 v12, 0x1000, v6
	v_lshrrev_b32_e32 v13, v9, v11
	s_delay_alu instid0(VALU_DEP_2) | instskip(NEXT) | instid1(VALU_DEP_2)
	v_lshrrev_b32_e32 v14, v4, v12
	v_lshlrev_b32_e32 v9, v9, v13
	s_delay_alu instid0(VALU_DEP_2) | instskip(NEXT) | instid1(VALU_DEP_2)
	v_lshlrev_b32_e32 v4, v4, v14
	v_cmp_ne_u32_e32 vcc_lo, v9, v11
	v_lshl_or_b32 v11, v8, 12, v2
	s_wait_alu 0xfffd
	v_cndmask_b32_e64 v9, 0, 1, vcc_lo
	v_cmp_ne_u32_e32 vcc_lo, v4, v12
	v_lshl_or_b32 v12, v10, 12, v6
	s_delay_alu instid0(VALU_DEP_3) | instskip(SKIP_3) | instid1(VALU_DEP_2)
	v_or_b32_e32 v9, v13, v9
	s_wait_alu 0xfffd
	v_cndmask_b32_e64 v4, 0, 1, vcc_lo
	v_cmp_gt_i32_e32 vcc_lo, 1, v8
	v_or_b32_e32 v4, v14, v4
	s_wait_alu 0xfffd
	v_cndmask_b32_e32 v9, v11, v9, vcc_lo
	v_cmp_gt_i32_e32 vcc_lo, 1, v10
	s_wait_alu 0xfffd
	s_delay_alu instid0(VALU_DEP_2) | instskip(SKIP_2) | instid1(VALU_DEP_3)
	v_dual_cndmask_b32 v4, v12, v4 :: v_dual_and_b32 v11, 7, v9
	v_cmp_ne_u32_e32 vcc_lo, 0, v2
	v_lshrrev_b32_e32 v9, 2, v9
	v_cmp_eq_u32_e64 s0, 3, v11
	s_delay_alu instid0(VALU_DEP_4)
	v_and_b32_e32 v12, 7, v4
	s_wait_alu 0xfffd
	v_cndmask_b32_e64 v2, 0, 1, vcc_lo
	v_cmp_ne_u32_e32 vcc_lo, 0, v6
	v_lshrrev_b32_e32 v4, 2, v4
	v_cmp_lt_i32_e64 s1, 5, v12
	v_cmp_eq_u32_e64 s2, 3, v12
	s_wait_alu 0xfffd
	v_cndmask_b32_e64 v6, 0, 1, vcc_lo
	v_cmp_lt_i32_e32 vcc_lo, 5, v11
	v_lshl_or_b32 v2, v2, 9, 0x7c00
	s_delay_alu instid0(VALU_DEP_3)
	v_lshl_or_b32 v6, v6, 9, 0x7c00
	s_or_b32 vcc_lo, s0, vcc_lo
	s_wait_alu 0xfffe
	v_add_co_ci_u32_e32 v9, vcc_lo, 0, v9, vcc_lo
	s_or_b32 vcc_lo, s2, s1
	s_wait_alu 0xfffe
	v_add_co_ci_u32_e32 v4, vcc_lo, 0, v4, vcc_lo
	v_cmp_gt_i32_e32 vcc_lo, 31, v8
	s_wait_alu 0xfffd
	v_cndmask_b32_e32 v9, 0x7c00, v9, vcc_lo
	v_cmp_gt_i32_e32 vcc_lo, 31, v10
	s_wait_alu 0xfffd
	v_cndmask_b32_e32 v4, 0x7c00, v4, vcc_lo
	v_cmp_eq_u32_e32 vcc_lo, 0x40f, v8
	s_wait_alu 0xfffd
	v_cndmask_b32_e32 v2, v9, v2, vcc_lo
	v_cmp_eq_u32_e32 vcc_lo, 0x40f, v10
	s_delay_alu instid0(VALU_DEP_2)
	v_and_or_b32 v2, 0x8000, v5, v2
	s_wait_alu 0xfffd
	v_cndmask_b32_e32 v4, v4, v6, vcc_lo
	v_add_co_u32 v0, vcc_lo, v0, s6
	s_wait_alu 0xfffd
	v_add_co_ci_u32_e32 v1, vcc_lo, s7, v1, vcc_lo
	s_delay_alu instid0(VALU_DEP_3) | instskip(SKIP_1) | instid1(VALU_DEP_1)
	v_and_or_b32 v4, 0x8000, v7, v4
	v_and_b32_e32 v2, 0xffff, v2
	v_lshl_or_b32 v2, v4, 16, v2
	v_lshrrev_b32_e32 v4, 16, v3
	global_store_b32 v[0:1], v2, off
	global_load_b32 v2, v[20:21], off offset:5656
	s_wait_loadcnt 0x0
	v_lshrrev_b32_e32 v5, 16, v2
	s_delay_alu instid0(VALU_DEP_1) | instskip(SKIP_1) | instid1(VALU_DEP_2)
	v_mul_f16_e32 v6, v4, v5
	v_mul_f16_e32 v5, v3, v5
	v_fmac_f16_e32 v6, v3, v2
	s_delay_alu instid0(VALU_DEP_2) | instskip(NEXT) | instid1(VALU_DEP_2)
	v_fma_f16 v2, v2, v4, -v5
	v_cvt_f32_f16_e32 v3, v6
	s_delay_alu instid0(VALU_DEP_2) | instskip(NEXT) | instid1(VALU_DEP_2)
	v_cvt_f32_f16_e32 v4, v2
	v_cvt_f64_f32_e32 v[2:3], v3
	s_delay_alu instid0(VALU_DEP_2) | instskip(NEXT) | instid1(VALU_DEP_2)
	v_cvt_f64_f32_e32 v[4:5], v4
	v_mul_f64_e32 v[2:3], s[8:9], v[2:3]
	s_delay_alu instid0(VALU_DEP_2) | instskip(NEXT) | instid1(VALU_DEP_2)
	v_mul_f64_e32 v[4:5], s[8:9], v[4:5]
	v_and_or_b32 v2, 0x1ff, v3, v2
	s_delay_alu instid0(VALU_DEP_2)
	v_and_or_b32 v4, 0x1ff, v5, v4
	v_lshrrev_b32_e32 v6, 8, v3
	v_bfe_u32 v7, v3, 20, 11
	v_lshrrev_b32_e32 v8, 8, v5
	v_cmp_ne_u32_e32 vcc_lo, 0, v2
	v_bfe_u32 v9, v5, 20, 11
	v_lshrrev_b32_e32 v3, 16, v3
	v_sub_nc_u32_e32 v10, 0x3f1, v7
	v_add_nc_u32_e32 v7, 0xfffffc10, v7
	s_wait_alu 0xfffd
	v_cndmask_b32_e64 v2, 0, 1, vcc_lo
	v_cmp_ne_u32_e32 vcc_lo, 0, v4
	v_lshrrev_b32_e32 v5, 16, v5
	s_delay_alu instid0(VALU_DEP_3) | instskip(SKIP_4) | instid1(VALU_DEP_3)
	v_and_or_b32 v2, 0xffe, v6, v2
	s_wait_alu 0xfffd
	v_cndmask_b32_e64 v4, 0, 1, vcc_lo
	v_sub_nc_u32_e32 v6, 0x3f1, v9
	v_add_nc_u32_e32 v9, 0xfffffc10, v9
	v_and_or_b32 v4, 0xffe, v8, v4
	v_med3_i32 v8, v10, 0, 13
	v_or_b32_e32 v10, 0x1000, v2
	v_med3_i32 v6, v6, 0, 13
	s_delay_alu instid0(VALU_DEP_4) | instskip(NEXT) | instid1(VALU_DEP_3)
	v_or_b32_e32 v11, 0x1000, v4
	v_lshrrev_b32_e32 v12, v8, v10
	s_delay_alu instid0(VALU_DEP_2) | instskip(NEXT) | instid1(VALU_DEP_2)
	v_lshrrev_b32_e32 v13, v6, v11
	v_lshlrev_b32_e32 v8, v8, v12
	s_delay_alu instid0(VALU_DEP_2) | instskip(NEXT) | instid1(VALU_DEP_2)
	v_lshlrev_b32_e32 v6, v6, v13
	v_cmp_ne_u32_e32 vcc_lo, v8, v10
	v_lshl_or_b32 v10, v7, 12, v2
	s_wait_alu 0xfffd
	v_cndmask_b32_e64 v8, 0, 1, vcc_lo
	v_cmp_ne_u32_e32 vcc_lo, v6, v11
	v_lshl_or_b32 v11, v9, 12, v4
	s_delay_alu instid0(VALU_DEP_3) | instskip(SKIP_3) | instid1(VALU_DEP_2)
	v_or_b32_e32 v8, v12, v8
	s_wait_alu 0xfffd
	v_cndmask_b32_e64 v6, 0, 1, vcc_lo
	v_cmp_gt_i32_e32 vcc_lo, 1, v7
	v_or_b32_e32 v6, v13, v6
	s_wait_alu 0xfffd
	v_cndmask_b32_e32 v8, v10, v8, vcc_lo
	v_cmp_gt_i32_e32 vcc_lo, 1, v9
	s_delay_alu instid0(VALU_DEP_2)
	v_and_b32_e32 v10, 7, v8
	s_wait_alu 0xfffd
	v_cndmask_b32_e32 v6, v11, v6, vcc_lo
	v_cmp_ne_u32_e32 vcc_lo, 0, v2
	v_lshrrev_b32_e32 v8, 2, v8
	v_cmp_eq_u32_e64 s0, 3, v10
	s_delay_alu instid0(VALU_DEP_4)
	v_and_b32_e32 v11, 7, v6
	s_wait_alu 0xfffd
	v_cndmask_b32_e64 v2, 0, 1, vcc_lo
	v_cmp_ne_u32_e32 vcc_lo, 0, v4
	v_lshrrev_b32_e32 v6, 2, v6
	v_cmp_lt_i32_e64 s1, 5, v11
	v_cmp_eq_u32_e64 s2, 3, v11
	s_wait_alu 0xfffd
	v_cndmask_b32_e64 v4, 0, 1, vcc_lo
	v_cmp_lt_i32_e32 vcc_lo, 5, v10
	v_lshl_or_b32 v2, v2, 9, 0x7c00
	s_delay_alu instid0(VALU_DEP_3)
	v_lshl_or_b32 v4, v4, 9, 0x7c00
	s_or_b32 vcc_lo, s0, vcc_lo
	s_wait_alu 0xfffe
	v_add_co_ci_u32_e32 v8, vcc_lo, 0, v8, vcc_lo
	s_or_b32 vcc_lo, s2, s1
	s_wait_alu 0xfffe
	v_add_co_ci_u32_e32 v6, vcc_lo, 0, v6, vcc_lo
	v_cmp_gt_i32_e32 vcc_lo, 31, v7
	s_wait_alu 0xfffd
	v_cndmask_b32_e32 v8, 0x7c00, v8, vcc_lo
	v_cmp_gt_i32_e32 vcc_lo, 31, v9
	s_wait_alu 0xfffd
	v_cndmask_b32_e32 v6, 0x7c00, v6, vcc_lo
	v_cmp_eq_u32_e32 vcc_lo, 0x40f, v7
	s_wait_alu 0xfffd
	v_cndmask_b32_e32 v2, v8, v2, vcc_lo
	v_cmp_eq_u32_e32 vcc_lo, 0x40f, v9
	s_delay_alu instid0(VALU_DEP_2)
	v_and_or_b32 v2, 0x8000, v3, v2
	s_wait_alu 0xfffd
	v_cndmask_b32_e32 v4, v6, v4, vcc_lo
	v_add_co_u32 v0, vcc_lo, v0, s6
	s_wait_alu 0xfffd
	v_add_co_ci_u32_e32 v1, vcc_lo, s7, v1, vcc_lo
	s_delay_alu instid0(VALU_DEP_3) | instskip(SKIP_1) | instid1(VALU_DEP_1)
	v_and_or_b32 v3, 0x8000, v5, v4
	v_and_b32_e32 v2, 0xffff, v2
	v_lshl_or_b32 v2, v3, 16, v2
	global_store_b32 v[0:1], v2, off
	global_load_b32 v4, v[20:21], off offset:6244
	ds_load_2addr_b32 v[2:3], v23 offset0:25 offset1:172
	s_wait_dscnt 0x0
	v_lshrrev_b32_e32 v5, 16, v2
	s_wait_loadcnt 0x0
	v_lshrrev_b32_e32 v6, 16, v4
	s_delay_alu instid0(VALU_DEP_1) | instskip(SKIP_1) | instid1(VALU_DEP_2)
	v_mul_f16_e32 v7, v5, v6
	v_mul_f16_e32 v6, v2, v6
	v_fmac_f16_e32 v7, v2, v4
	s_delay_alu instid0(VALU_DEP_2) | instskip(NEXT) | instid1(VALU_DEP_2)
	v_fma_f16 v2, v4, v5, -v6
	v_cvt_f32_f16_e32 v4, v7
	s_delay_alu instid0(VALU_DEP_2) | instskip(NEXT) | instid1(VALU_DEP_2)
	v_cvt_f32_f16_e32 v2, v2
	v_cvt_f64_f32_e32 v[4:5], v4
	s_delay_alu instid0(VALU_DEP_2) | instskip(NEXT) | instid1(VALU_DEP_2)
	v_cvt_f64_f32_e32 v[6:7], v2
	v_mul_f64_e32 v[4:5], s[8:9], v[4:5]
	s_delay_alu instid0(VALU_DEP_2) | instskip(NEXT) | instid1(VALU_DEP_2)
	v_mul_f64_e32 v[6:7], s[8:9], v[6:7]
	v_and_or_b32 v2, 0x1ff, v5, v4
	s_delay_alu instid0(VALU_DEP_2)
	v_and_or_b32 v6, 0x1ff, v7, v6
	v_lshrrev_b32_e32 v4, 8, v5
	v_bfe_u32 v8, v5, 20, 11
	v_lshrrev_b32_e32 v9, 8, v7
	v_cmp_ne_u32_e32 vcc_lo, 0, v2
	v_bfe_u32 v10, v7, 20, 11
	v_lshrrev_b32_e32 v5, 16, v5
	v_sub_nc_u32_e32 v11, 0x3f1, v8
	v_add_nc_u32_e32 v8, 0xfffffc10, v8
	s_wait_alu 0xfffd
	v_cndmask_b32_e64 v2, 0, 1, vcc_lo
	v_cmp_ne_u32_e32 vcc_lo, 0, v6
	v_lshrrev_b32_e32 v7, 16, v7
	s_delay_alu instid0(VALU_DEP_3) | instskip(SKIP_4) | instid1(VALU_DEP_3)
	v_and_or_b32 v2, 0xffe, v4, v2
	s_wait_alu 0xfffd
	v_cndmask_b32_e64 v6, 0, 1, vcc_lo
	v_sub_nc_u32_e32 v4, 0x3f1, v10
	v_add_nc_u32_e32 v10, 0xfffffc10, v10
	v_and_or_b32 v6, 0xffe, v9, v6
	v_med3_i32 v9, v11, 0, 13
	v_or_b32_e32 v11, 0x1000, v2
	v_med3_i32 v4, v4, 0, 13
	s_delay_alu instid0(VALU_DEP_4) | instskip(NEXT) | instid1(VALU_DEP_3)
	v_or_b32_e32 v12, 0x1000, v6
	v_lshrrev_b32_e32 v13, v9, v11
	s_delay_alu instid0(VALU_DEP_2) | instskip(NEXT) | instid1(VALU_DEP_2)
	v_lshrrev_b32_e32 v14, v4, v12
	v_lshlrev_b32_e32 v9, v9, v13
	s_delay_alu instid0(VALU_DEP_2) | instskip(NEXT) | instid1(VALU_DEP_2)
	v_lshlrev_b32_e32 v4, v4, v14
	v_cmp_ne_u32_e32 vcc_lo, v9, v11
	v_lshl_or_b32 v11, v8, 12, v2
	s_wait_alu 0xfffd
	v_cndmask_b32_e64 v9, 0, 1, vcc_lo
	v_cmp_ne_u32_e32 vcc_lo, v4, v12
	v_lshl_or_b32 v12, v10, 12, v6
	s_delay_alu instid0(VALU_DEP_3) | instskip(SKIP_3) | instid1(VALU_DEP_2)
	v_or_b32_e32 v9, v13, v9
	s_wait_alu 0xfffd
	v_cndmask_b32_e64 v4, 0, 1, vcc_lo
	v_cmp_gt_i32_e32 vcc_lo, 1, v8
	v_or_b32_e32 v4, v14, v4
	s_wait_alu 0xfffd
	v_cndmask_b32_e32 v9, v11, v9, vcc_lo
	v_cmp_gt_i32_e32 vcc_lo, 1, v10
	s_wait_alu 0xfffd
	s_delay_alu instid0(VALU_DEP_2) | instskip(SKIP_2) | instid1(VALU_DEP_3)
	v_dual_cndmask_b32 v4, v12, v4 :: v_dual_and_b32 v11, 7, v9
	v_cmp_ne_u32_e32 vcc_lo, 0, v2
	v_lshrrev_b32_e32 v9, 2, v9
	v_cmp_eq_u32_e64 s0, 3, v11
	s_delay_alu instid0(VALU_DEP_4)
	v_and_b32_e32 v12, 7, v4
	s_wait_alu 0xfffd
	v_cndmask_b32_e64 v2, 0, 1, vcc_lo
	v_cmp_ne_u32_e32 vcc_lo, 0, v6
	v_lshrrev_b32_e32 v4, 2, v4
	v_cmp_lt_i32_e64 s1, 5, v12
	v_cmp_eq_u32_e64 s2, 3, v12
	s_wait_alu 0xfffd
	v_cndmask_b32_e64 v6, 0, 1, vcc_lo
	v_cmp_lt_i32_e32 vcc_lo, 5, v11
	v_lshl_or_b32 v2, v2, 9, 0x7c00
	s_delay_alu instid0(VALU_DEP_3)
	v_lshl_or_b32 v6, v6, 9, 0x7c00
	s_or_b32 vcc_lo, s0, vcc_lo
	s_wait_alu 0xfffe
	v_add_co_ci_u32_e32 v9, vcc_lo, 0, v9, vcc_lo
	s_or_b32 vcc_lo, s2, s1
	s_wait_alu 0xfffe
	v_add_co_ci_u32_e32 v4, vcc_lo, 0, v4, vcc_lo
	v_cmp_gt_i32_e32 vcc_lo, 31, v8
	s_wait_alu 0xfffd
	v_cndmask_b32_e32 v9, 0x7c00, v9, vcc_lo
	v_cmp_gt_i32_e32 vcc_lo, 31, v10
	s_wait_alu 0xfffd
	v_cndmask_b32_e32 v4, 0x7c00, v4, vcc_lo
	v_cmp_eq_u32_e32 vcc_lo, 0x40f, v8
	s_wait_alu 0xfffd
	v_cndmask_b32_e32 v2, v9, v2, vcc_lo
	v_cmp_eq_u32_e32 vcc_lo, 0x40f, v10
	s_delay_alu instid0(VALU_DEP_2)
	v_and_or_b32 v2, 0x8000, v5, v2
	s_wait_alu 0xfffd
	v_cndmask_b32_e32 v4, v4, v6, vcc_lo
	v_add_co_u32 v0, vcc_lo, v0, s6
	s_wait_alu 0xfffd
	v_add_co_ci_u32_e32 v1, vcc_lo, s7, v1, vcc_lo
	s_delay_alu instid0(VALU_DEP_3) | instskip(SKIP_1) | instid1(VALU_DEP_1)
	v_and_or_b32 v4, 0x8000, v7, v4
	v_and_b32_e32 v2, 0xffff, v2
	v_lshl_or_b32 v2, v4, 16, v2
	v_lshrrev_b32_e32 v4, 16, v3
	global_store_b32 v[0:1], v2, off
	global_load_b32 v2, v[20:21], off offset:6832
	s_wait_loadcnt 0x0
	v_lshrrev_b32_e32 v5, 16, v2
	s_delay_alu instid0(VALU_DEP_1) | instskip(SKIP_1) | instid1(VALU_DEP_2)
	v_mul_f16_e32 v6, v4, v5
	v_mul_f16_e32 v5, v3, v5
	v_fmac_f16_e32 v6, v3, v2
	s_delay_alu instid0(VALU_DEP_2) | instskip(NEXT) | instid1(VALU_DEP_2)
	v_fma_f16 v2, v2, v4, -v5
	v_cvt_f32_f16_e32 v3, v6
	s_delay_alu instid0(VALU_DEP_2) | instskip(NEXT) | instid1(VALU_DEP_2)
	v_cvt_f32_f16_e32 v4, v2
	v_cvt_f64_f32_e32 v[2:3], v3
	s_delay_alu instid0(VALU_DEP_2) | instskip(NEXT) | instid1(VALU_DEP_2)
	v_cvt_f64_f32_e32 v[4:5], v4
	v_mul_f64_e32 v[2:3], s[8:9], v[2:3]
	s_delay_alu instid0(VALU_DEP_2) | instskip(NEXT) | instid1(VALU_DEP_2)
	v_mul_f64_e32 v[4:5], s[8:9], v[4:5]
	v_and_or_b32 v2, 0x1ff, v3, v2
	s_delay_alu instid0(VALU_DEP_2)
	v_and_or_b32 v4, 0x1ff, v5, v4
	v_lshrrev_b32_e32 v6, 8, v3
	v_bfe_u32 v7, v3, 20, 11
	v_lshrrev_b32_e32 v8, 8, v5
	v_cmp_ne_u32_e32 vcc_lo, 0, v2
	v_bfe_u32 v9, v5, 20, 11
	v_lshrrev_b32_e32 v3, 16, v3
	v_sub_nc_u32_e32 v10, 0x3f1, v7
	v_add_nc_u32_e32 v7, 0xfffffc10, v7
	s_wait_alu 0xfffd
	v_cndmask_b32_e64 v2, 0, 1, vcc_lo
	v_cmp_ne_u32_e32 vcc_lo, 0, v4
	v_lshrrev_b32_e32 v5, 16, v5
	s_delay_alu instid0(VALU_DEP_3) | instskip(SKIP_4) | instid1(VALU_DEP_3)
	v_and_or_b32 v2, 0xffe, v6, v2
	s_wait_alu 0xfffd
	v_cndmask_b32_e64 v4, 0, 1, vcc_lo
	v_sub_nc_u32_e32 v6, 0x3f1, v9
	v_add_nc_u32_e32 v9, 0xfffffc10, v9
	v_and_or_b32 v4, 0xffe, v8, v4
	v_med3_i32 v8, v10, 0, 13
	v_or_b32_e32 v10, 0x1000, v2
	v_med3_i32 v6, v6, 0, 13
	s_delay_alu instid0(VALU_DEP_4) | instskip(NEXT) | instid1(VALU_DEP_3)
	v_or_b32_e32 v11, 0x1000, v4
	v_lshrrev_b32_e32 v12, v8, v10
	s_delay_alu instid0(VALU_DEP_2) | instskip(NEXT) | instid1(VALU_DEP_2)
	v_lshrrev_b32_e32 v13, v6, v11
	v_lshlrev_b32_e32 v8, v8, v12
	s_delay_alu instid0(VALU_DEP_2) | instskip(NEXT) | instid1(VALU_DEP_2)
	v_lshlrev_b32_e32 v6, v6, v13
	v_cmp_ne_u32_e32 vcc_lo, v8, v10
	v_lshl_or_b32 v10, v7, 12, v2
	s_wait_alu 0xfffd
	v_cndmask_b32_e64 v8, 0, 1, vcc_lo
	v_cmp_ne_u32_e32 vcc_lo, v6, v11
	v_lshl_or_b32 v11, v9, 12, v4
	s_delay_alu instid0(VALU_DEP_3) | instskip(SKIP_3) | instid1(VALU_DEP_2)
	v_or_b32_e32 v8, v12, v8
	s_wait_alu 0xfffd
	v_cndmask_b32_e64 v6, 0, 1, vcc_lo
	v_cmp_gt_i32_e32 vcc_lo, 1, v7
	v_or_b32_e32 v6, v13, v6
	s_wait_alu 0xfffd
	v_cndmask_b32_e32 v8, v10, v8, vcc_lo
	v_cmp_gt_i32_e32 vcc_lo, 1, v9
	s_delay_alu instid0(VALU_DEP_2)
	v_and_b32_e32 v10, 7, v8
	s_wait_alu 0xfffd
	v_cndmask_b32_e32 v6, v11, v6, vcc_lo
	v_cmp_ne_u32_e32 vcc_lo, 0, v2
	v_lshrrev_b32_e32 v8, 2, v8
	v_cmp_eq_u32_e64 s0, 3, v10
	s_delay_alu instid0(VALU_DEP_4)
	v_and_b32_e32 v11, 7, v6
	s_wait_alu 0xfffd
	v_cndmask_b32_e64 v2, 0, 1, vcc_lo
	v_cmp_ne_u32_e32 vcc_lo, 0, v4
	v_lshrrev_b32_e32 v6, 2, v6
	v_cmp_lt_i32_e64 s1, 5, v11
	v_cmp_eq_u32_e64 s2, 3, v11
	s_wait_alu 0xfffd
	v_cndmask_b32_e64 v4, 0, 1, vcc_lo
	v_cmp_lt_i32_e32 vcc_lo, 5, v10
	v_lshl_or_b32 v2, v2, 9, 0x7c00
	s_delay_alu instid0(VALU_DEP_3)
	v_lshl_or_b32 v4, v4, 9, 0x7c00
	s_or_b32 vcc_lo, s0, vcc_lo
	s_wait_alu 0xfffe
	v_add_co_ci_u32_e32 v8, vcc_lo, 0, v8, vcc_lo
	s_or_b32 vcc_lo, s2, s1
	s_wait_alu 0xfffe
	v_add_co_ci_u32_e32 v6, vcc_lo, 0, v6, vcc_lo
	v_cmp_gt_i32_e32 vcc_lo, 31, v7
	s_wait_alu 0xfffd
	v_cndmask_b32_e32 v8, 0x7c00, v8, vcc_lo
	v_cmp_gt_i32_e32 vcc_lo, 31, v9
	s_wait_alu 0xfffd
	v_cndmask_b32_e32 v6, 0x7c00, v6, vcc_lo
	v_cmp_eq_u32_e32 vcc_lo, 0x40f, v7
	s_wait_alu 0xfffd
	v_cndmask_b32_e32 v2, v8, v2, vcc_lo
	v_cmp_eq_u32_e32 vcc_lo, 0x40f, v9
	s_delay_alu instid0(VALU_DEP_2)
	v_and_or_b32 v2, 0x8000, v3, v2
	s_wait_alu 0xfffd
	v_cndmask_b32_e32 v4, v6, v4, vcc_lo
	v_add_co_u32 v0, vcc_lo, v0, s6
	s_wait_alu 0xfffd
	v_add_co_ci_u32_e32 v1, vcc_lo, s7, v1, vcc_lo
	s_delay_alu instid0(VALU_DEP_3) | instskip(SKIP_1) | instid1(VALU_DEP_1)
	v_and_or_b32 v3, 0x8000, v5, v4
	v_and_b32_e32 v2, 0xffff, v2
	v_lshl_or_b32 v2, v3, 16, v2
	ds_load_b32 v3, v73 offset:7420
	global_store_b32 v[0:1], v2, off
	global_load_b32 v2, v[20:21], off offset:7420
	s_wait_dscnt 0x0
	v_lshrrev_b32_e32 v4, 16, v3
	s_wait_loadcnt 0x0
	v_lshrrev_b32_e32 v5, 16, v2
	s_delay_alu instid0(VALU_DEP_1) | instskip(SKIP_1) | instid1(VALU_DEP_2)
	v_mul_f16_e32 v6, v4, v5
	v_mul_f16_e32 v5, v3, v5
	v_fmac_f16_e32 v6, v3, v2
	s_delay_alu instid0(VALU_DEP_2) | instskip(NEXT) | instid1(VALU_DEP_2)
	v_fma_f16 v2, v2, v4, -v5
	v_cvt_f32_f16_e32 v3, v6
	s_delay_alu instid0(VALU_DEP_2) | instskip(NEXT) | instid1(VALU_DEP_2)
	v_cvt_f32_f16_e32 v4, v2
	v_cvt_f64_f32_e32 v[2:3], v3
	s_delay_alu instid0(VALU_DEP_2) | instskip(NEXT) | instid1(VALU_DEP_2)
	v_cvt_f64_f32_e32 v[4:5], v4
	v_mul_f64_e32 v[2:3], s[8:9], v[2:3]
	s_delay_alu instid0(VALU_DEP_2) | instskip(NEXT) | instid1(VALU_DEP_2)
	v_mul_f64_e32 v[4:5], s[8:9], v[4:5]
	v_and_or_b32 v2, 0x1ff, v3, v2
	s_delay_alu instid0(VALU_DEP_2)
	v_and_or_b32 v4, 0x1ff, v5, v4
	v_lshrrev_b32_e32 v6, 8, v3
	v_bfe_u32 v7, v3, 20, 11
	v_lshrrev_b32_e32 v8, 8, v5
	v_cmp_ne_u32_e32 vcc_lo, 0, v2
	v_bfe_u32 v9, v5, 20, 11
	v_lshrrev_b32_e32 v3, 16, v3
	v_sub_nc_u32_e32 v10, 0x3f1, v7
	v_add_nc_u32_e32 v7, 0xfffffc10, v7
	s_wait_alu 0xfffd
	v_cndmask_b32_e64 v2, 0, 1, vcc_lo
	v_cmp_ne_u32_e32 vcc_lo, 0, v4
	v_lshrrev_b32_e32 v5, 16, v5
	s_delay_alu instid0(VALU_DEP_3) | instskip(SKIP_4) | instid1(VALU_DEP_3)
	v_and_or_b32 v2, 0xffe, v6, v2
	s_wait_alu 0xfffd
	v_cndmask_b32_e64 v4, 0, 1, vcc_lo
	v_sub_nc_u32_e32 v6, 0x3f1, v9
	v_add_nc_u32_e32 v9, 0xfffffc10, v9
	v_and_or_b32 v4, 0xffe, v8, v4
	v_med3_i32 v8, v10, 0, 13
	v_or_b32_e32 v10, 0x1000, v2
	v_med3_i32 v6, v6, 0, 13
	s_delay_alu instid0(VALU_DEP_4) | instskip(NEXT) | instid1(VALU_DEP_3)
	v_or_b32_e32 v11, 0x1000, v4
	v_lshrrev_b32_e32 v12, v8, v10
	s_delay_alu instid0(VALU_DEP_2) | instskip(NEXT) | instid1(VALU_DEP_2)
	v_lshrrev_b32_e32 v13, v6, v11
	v_lshlrev_b32_e32 v8, v8, v12
	s_delay_alu instid0(VALU_DEP_2) | instskip(NEXT) | instid1(VALU_DEP_2)
	v_lshlrev_b32_e32 v6, v6, v13
	v_cmp_ne_u32_e32 vcc_lo, v8, v10
	v_lshl_or_b32 v10, v7, 12, v2
	s_wait_alu 0xfffd
	v_cndmask_b32_e64 v8, 0, 1, vcc_lo
	v_cmp_ne_u32_e32 vcc_lo, v6, v11
	v_lshl_or_b32 v11, v9, 12, v4
	s_delay_alu instid0(VALU_DEP_3) | instskip(SKIP_3) | instid1(VALU_DEP_2)
	v_or_b32_e32 v8, v12, v8
	s_wait_alu 0xfffd
	v_cndmask_b32_e64 v6, 0, 1, vcc_lo
	v_cmp_gt_i32_e32 vcc_lo, 1, v7
	v_or_b32_e32 v6, v13, v6
	s_wait_alu 0xfffd
	v_cndmask_b32_e32 v8, v10, v8, vcc_lo
	v_cmp_gt_i32_e32 vcc_lo, 1, v9
	s_delay_alu instid0(VALU_DEP_2)
	v_and_b32_e32 v10, 7, v8
	s_wait_alu 0xfffd
	v_cndmask_b32_e32 v6, v11, v6, vcc_lo
	v_cmp_ne_u32_e32 vcc_lo, 0, v2
	v_lshrrev_b32_e32 v8, 2, v8
	v_cmp_eq_u32_e64 s0, 3, v10
	s_delay_alu instid0(VALU_DEP_4)
	v_and_b32_e32 v11, 7, v6
	s_wait_alu 0xfffd
	v_cndmask_b32_e64 v2, 0, 1, vcc_lo
	v_cmp_ne_u32_e32 vcc_lo, 0, v4
	v_lshrrev_b32_e32 v6, 2, v6
	v_cmp_lt_i32_e64 s1, 5, v11
	v_cmp_eq_u32_e64 s2, 3, v11
	s_wait_alu 0xfffd
	v_cndmask_b32_e64 v4, 0, 1, vcc_lo
	v_cmp_lt_i32_e32 vcc_lo, 5, v10
	v_lshl_or_b32 v2, v2, 9, 0x7c00
	s_delay_alu instid0(VALU_DEP_3)
	v_lshl_or_b32 v4, v4, 9, 0x7c00
	s_or_b32 vcc_lo, s0, vcc_lo
	s_wait_alu 0xfffe
	v_add_co_ci_u32_e32 v8, vcc_lo, 0, v8, vcc_lo
	s_or_b32 vcc_lo, s2, s1
	s_wait_alu 0xfffe
	v_add_co_ci_u32_e32 v6, vcc_lo, 0, v6, vcc_lo
	v_cmp_gt_i32_e32 vcc_lo, 31, v7
	s_wait_alu 0xfffd
	v_cndmask_b32_e32 v8, 0x7c00, v8, vcc_lo
	v_cmp_gt_i32_e32 vcc_lo, 31, v9
	s_wait_alu 0xfffd
	v_cndmask_b32_e32 v6, 0x7c00, v6, vcc_lo
	v_cmp_eq_u32_e32 vcc_lo, 0x40f, v7
	s_wait_alu 0xfffd
	v_cndmask_b32_e32 v2, v8, v2, vcc_lo
	v_cmp_eq_u32_e32 vcc_lo, 0x40f, v9
	s_delay_alu instid0(VALU_DEP_2)
	v_and_or_b32 v2, 0x8000, v3, v2
	s_wait_alu 0xfffd
	v_cndmask_b32_e32 v4, v6, v4, vcc_lo
	v_add_co_u32 v0, vcc_lo, v0, s6
	s_wait_alu 0xfffd
	v_add_co_ci_u32_e32 v1, vcc_lo, s7, v1, vcc_lo
	s_delay_alu instid0(VALU_DEP_3) | instskip(SKIP_1) | instid1(VALU_DEP_1)
	v_and_or_b32 v3, 0x8000, v5, v4
	v_and_b32_e32 v2, 0xffff, v2
	v_lshl_or_b32 v2, v3, 16, v2
	global_store_b32 v[0:1], v2, off
.LBB0_15:
	s_nop 0
	s_sendmsg sendmsg(MSG_DEALLOC_VGPRS)
	s_endpgm
	.section	.rodata,"a",@progbits
	.p2align	6, 0x0
	.amdhsa_kernel bluestein_single_back_len1911_dim1_half_op_CI_CI
		.amdhsa_group_segment_fixed_size 7644
		.amdhsa_private_segment_fixed_size 0
		.amdhsa_kernarg_size 104
		.amdhsa_user_sgpr_count 2
		.amdhsa_user_sgpr_dispatch_ptr 0
		.amdhsa_user_sgpr_queue_ptr 0
		.amdhsa_user_sgpr_kernarg_segment_ptr 1
		.amdhsa_user_sgpr_dispatch_id 0
		.amdhsa_user_sgpr_private_segment_size 0
		.amdhsa_wavefront_size32 1
		.amdhsa_uses_dynamic_stack 0
		.amdhsa_enable_private_segment 0
		.amdhsa_system_sgpr_workgroup_id_x 1
		.amdhsa_system_sgpr_workgroup_id_y 0
		.amdhsa_system_sgpr_workgroup_id_z 0
		.amdhsa_system_sgpr_workgroup_info 0
		.amdhsa_system_vgpr_workitem_id 0
		.amdhsa_next_free_vgpr 248
		.amdhsa_next_free_sgpr 16
		.amdhsa_reserve_vcc 1
		.amdhsa_float_round_mode_32 0
		.amdhsa_float_round_mode_16_64 0
		.amdhsa_float_denorm_mode_32 3
		.amdhsa_float_denorm_mode_16_64 3
		.amdhsa_fp16_overflow 0
		.amdhsa_workgroup_processor_mode 1
		.amdhsa_memory_ordered 1
		.amdhsa_forward_progress 0
		.amdhsa_round_robin_scheduling 0
		.amdhsa_exception_fp_ieee_invalid_op 0
		.amdhsa_exception_fp_denorm_src 0
		.amdhsa_exception_fp_ieee_div_zero 0
		.amdhsa_exception_fp_ieee_overflow 0
		.amdhsa_exception_fp_ieee_underflow 0
		.amdhsa_exception_fp_ieee_inexact 0
		.amdhsa_exception_int_div_zero 0
	.end_amdhsa_kernel
	.text
.Lfunc_end0:
	.size	bluestein_single_back_len1911_dim1_half_op_CI_CI, .Lfunc_end0-bluestein_single_back_len1911_dim1_half_op_CI_CI
                                        ; -- End function
	.section	.AMDGPU.csdata,"",@progbits
; Kernel info:
; codeLenInByte = 53472
; NumSgprs: 18
; NumVgprs: 248
; ScratchSize: 0
; MemoryBound: 0
; FloatMode: 240
; IeeeMode: 1
; LDSByteSize: 7644 bytes/workgroup (compile time only)
; SGPRBlocks: 2
; VGPRBlocks: 30
; NumSGPRsForWavesPerEU: 18
; NumVGPRsForWavesPerEU: 248
; Occupancy: 5
; WaveLimiterHint : 1
; COMPUTE_PGM_RSRC2:SCRATCH_EN: 0
; COMPUTE_PGM_RSRC2:USER_SGPR: 2
; COMPUTE_PGM_RSRC2:TRAP_HANDLER: 0
; COMPUTE_PGM_RSRC2:TGID_X_EN: 1
; COMPUTE_PGM_RSRC2:TGID_Y_EN: 0
; COMPUTE_PGM_RSRC2:TGID_Z_EN: 0
; COMPUTE_PGM_RSRC2:TIDIG_COMP_CNT: 0
	.text
	.p2alignl 7, 3214868480
	.fill 96, 4, 3214868480
	.type	__hip_cuid_a7b7b528fd291031,@object ; @__hip_cuid_a7b7b528fd291031
	.section	.bss,"aw",@nobits
	.globl	__hip_cuid_a7b7b528fd291031
__hip_cuid_a7b7b528fd291031:
	.byte	0                               ; 0x0
	.size	__hip_cuid_a7b7b528fd291031, 1

	.ident	"AMD clang version 19.0.0git (https://github.com/RadeonOpenCompute/llvm-project roc-6.4.0 25133 c7fe45cf4b819c5991fe208aaa96edf142730f1d)"
	.section	".note.GNU-stack","",@progbits
	.addrsig
	.addrsig_sym __hip_cuid_a7b7b528fd291031
	.amdgpu_metadata
---
amdhsa.kernels:
  - .args:
      - .actual_access:  read_only
        .address_space:  global
        .offset:         0
        .size:           8
        .value_kind:     global_buffer
      - .actual_access:  read_only
        .address_space:  global
        .offset:         8
        .size:           8
        .value_kind:     global_buffer
      - .actual_access:  read_only
        .address_space:  global
        .offset:         16
        .size:           8
        .value_kind:     global_buffer
      - .actual_access:  read_only
        .address_space:  global
        .offset:         24
        .size:           8
        .value_kind:     global_buffer
      - .actual_access:  read_only
        .address_space:  global
        .offset:         32
        .size:           8
        .value_kind:     global_buffer
      - .offset:         40
        .size:           8
        .value_kind:     by_value
      - .address_space:  global
        .offset:         48
        .size:           8
        .value_kind:     global_buffer
      - .address_space:  global
        .offset:         56
        .size:           8
        .value_kind:     global_buffer
      - .address_space:  global
        .offset:         64
        .size:           8
        .value_kind:     global_buffer
      - .address_space:  global
        .offset:         72
        .size:           8
        .value_kind:     global_buffer
      - .offset:         80
        .size:           4
        .value_kind:     by_value
      - .address_space:  global
        .offset:         88
        .size:           8
        .value_kind:     global_buffer
      - .address_space:  global
        .offset:         96
        .size:           8
        .value_kind:     global_buffer
    .group_segment_fixed_size: 7644
    .kernarg_segment_align: 8
    .kernarg_segment_size: 104
    .language:       OpenCL C
    .language_version:
      - 2
      - 0
    .max_flat_workgroup_size: 91
    .name:           bluestein_single_back_len1911_dim1_half_op_CI_CI
    .private_segment_fixed_size: 0
    .sgpr_count:     18
    .sgpr_spill_count: 0
    .symbol:         bluestein_single_back_len1911_dim1_half_op_CI_CI.kd
    .uniform_work_group_size: 1
    .uses_dynamic_stack: false
    .vgpr_count:     248
    .vgpr_spill_count: 0
    .wavefront_size: 32
    .workgroup_processor_mode: 1
amdhsa.target:   amdgcn-amd-amdhsa--gfx1201
amdhsa.version:
  - 1
  - 2
...

	.end_amdgpu_metadata
